;; amdgpu-corpus repo=ROCm/rocFFT kind=compiled arch=gfx906 opt=O3
	.text
	.amdgcn_target "amdgcn-amd-amdhsa--gfx906"
	.amdhsa_code_object_version 6
	.protected	fft_rtc_fwd_len150_factors_10_5_3_wgs_60_tpt_5_halfLds_sp_op_CI_CI_sbrr_dirReg ; -- Begin function fft_rtc_fwd_len150_factors_10_5_3_wgs_60_tpt_5_halfLds_sp_op_CI_CI_sbrr_dirReg
	.globl	fft_rtc_fwd_len150_factors_10_5_3_wgs_60_tpt_5_halfLds_sp_op_CI_CI_sbrr_dirReg
	.p2align	8
	.type	fft_rtc_fwd_len150_factors_10_5_3_wgs_60_tpt_5_halfLds_sp_op_CI_CI_sbrr_dirReg,@function
fft_rtc_fwd_len150_factors_10_5_3_wgs_60_tpt_5_halfLds_sp_op_CI_CI_sbrr_dirReg: ; @fft_rtc_fwd_len150_factors_10_5_3_wgs_60_tpt_5_halfLds_sp_op_CI_CI_sbrr_dirReg
; %bb.0:
	s_load_dwordx4 s[16:19], s[4:5], 0x18
	s_load_dwordx4 s[12:15], s[4:5], 0x0
	;; [unrolled: 1-line block ×3, first 2 shown]
	v_mul_u32_u24_e32 v1, 0x3334, v0
	v_lshrrev_b32_e32 v1, 16, v1
	v_mad_u64_u32 v[27:28], s[0:1], s6, 12, v[1:2]
	s_waitcnt lgkmcnt(0)
	s_load_dwordx2 s[20:21], s[16:17], 0x0
	s_load_dwordx2 s[2:3], s[18:19], 0x0
	v_mov_b32_e32 v5, 0
	v_cmp_lt_u64_e64 s[0:1], s[14:15], 2
	v_mov_b32_e32 v64, 0
	v_mov_b32_e32 v28, v5
	;; [unrolled: 1-line block ×5, first 2 shown]
	s_and_b64 vcc, exec, s[0:1]
	v_mov_b32_e32 v2, v65
	v_mov_b32_e32 v4, v28
	s_cbranch_vccnz .LBB0_8
; %bb.1:
	s_load_dwordx2 s[0:1], s[4:5], 0x10
	s_add_u32 s6, s18, 8
	s_addc_u32 s7, s19, 0
	s_add_u32 s22, s16, 8
	s_addc_u32 s23, s17, 0
	v_mov_b32_e32 v64, 0
	s_waitcnt lgkmcnt(0)
	s_add_u32 s24, s0, 8
	v_mov_b32_e32 v65, 0
	v_mov_b32_e32 v1, v64
	;; [unrolled: 1-line block ×3, first 2 shown]
	s_addc_u32 s25, s1, 0
	s_mov_b64 s[26:27], 1
	v_mov_b32_e32 v2, v65
	v_mov_b32_e32 v8, v28
.LBB0_2:                                ; =>This Inner Loop Header: Depth=1
	s_load_dwordx2 s[28:29], s[24:25], 0x0
                                        ; implicit-def: $vgpr3_vgpr4
	s_waitcnt lgkmcnt(0)
	v_or_b32_e32 v6, s29, v8
	v_cmp_ne_u64_e32 vcc, 0, v[5:6]
	s_and_saveexec_b64 s[0:1], vcc
	s_xor_b64 s[30:31], exec, s[0:1]
	s_cbranch_execz .LBB0_4
; %bb.3:                                ;   in Loop: Header=BB0_2 Depth=1
	v_cvt_f32_u32_e32 v3, s28
	v_cvt_f32_u32_e32 v4, s29
	s_sub_u32 s0, 0, s28
	s_subb_u32 s1, 0, s29
	v_mac_f32_e32 v3, 0x4f800000, v4
	v_rcp_f32_e32 v3, v3
	v_mul_f32_e32 v3, 0x5f7ffffc, v3
	v_mul_f32_e32 v4, 0x2f800000, v3
	v_trunc_f32_e32 v4, v4
	v_mac_f32_e32 v3, 0xcf800000, v4
	v_cvt_u32_f32_e32 v4, v4
	v_cvt_u32_f32_e32 v3, v3
	v_mul_lo_u32 v6, s0, v4
	v_mul_hi_u32 v9, s0, v3
	v_mul_lo_u32 v11, s1, v3
	v_mul_lo_u32 v10, s0, v3
	v_add_u32_e32 v6, v9, v6
	v_add_u32_e32 v6, v6, v11
	v_mul_hi_u32 v9, v3, v10
	v_mul_lo_u32 v11, v3, v6
	v_mul_hi_u32 v13, v3, v6
	v_mul_hi_u32 v12, v4, v10
	v_mul_lo_u32 v10, v4, v10
	v_mul_hi_u32 v14, v4, v6
	v_add_co_u32_e32 v9, vcc, v9, v11
	v_addc_co_u32_e32 v11, vcc, 0, v13, vcc
	v_mul_lo_u32 v6, v4, v6
	v_add_co_u32_e32 v9, vcc, v9, v10
	v_addc_co_u32_e32 v9, vcc, v11, v12, vcc
	v_addc_co_u32_e32 v10, vcc, 0, v14, vcc
	v_add_co_u32_e32 v6, vcc, v9, v6
	v_addc_co_u32_e32 v9, vcc, 0, v10, vcc
	v_add_co_u32_e32 v3, vcc, v3, v6
	v_addc_co_u32_e32 v4, vcc, v4, v9, vcc
	v_mul_lo_u32 v6, s0, v4
	v_mul_hi_u32 v9, s0, v3
	v_mul_lo_u32 v10, s1, v3
	v_mul_lo_u32 v11, s0, v3
	v_add_u32_e32 v6, v9, v6
	v_add_u32_e32 v6, v6, v10
	v_mul_lo_u32 v12, v3, v6
	v_mul_hi_u32 v13, v3, v11
	v_mul_hi_u32 v14, v3, v6
	;; [unrolled: 1-line block ×3, first 2 shown]
	v_mul_lo_u32 v11, v4, v11
	v_mul_hi_u32 v9, v4, v6
	v_add_co_u32_e32 v12, vcc, v13, v12
	v_addc_co_u32_e32 v13, vcc, 0, v14, vcc
	v_mul_lo_u32 v6, v4, v6
	v_add_co_u32_e32 v11, vcc, v12, v11
	v_addc_co_u32_e32 v10, vcc, v13, v10, vcc
	v_addc_co_u32_e32 v9, vcc, 0, v9, vcc
	v_add_co_u32_e32 v6, vcc, v10, v6
	v_addc_co_u32_e32 v9, vcc, 0, v9, vcc
	v_add_co_u32_e32 v6, vcc, v3, v6
	v_addc_co_u32_e32 v9, vcc, v4, v9, vcc
	v_mad_u64_u32 v[3:4], s[0:1], v7, v9, 0
	v_mul_hi_u32 v10, v7, v6
	v_add_co_u32_e32 v11, vcc, v10, v3
	v_addc_co_u32_e32 v12, vcc, 0, v4, vcc
	v_mad_u64_u32 v[3:4], s[0:1], v8, v6, 0
	v_mad_u64_u32 v[9:10], s[0:1], v8, v9, 0
	v_add_co_u32_e32 v3, vcc, v11, v3
	v_addc_co_u32_e32 v3, vcc, v12, v4, vcc
	v_addc_co_u32_e32 v4, vcc, 0, v10, vcc
	v_add_co_u32_e32 v6, vcc, v3, v9
	v_addc_co_u32_e32 v9, vcc, 0, v4, vcc
	v_mul_lo_u32 v10, s29, v6
	v_mul_lo_u32 v11, s28, v9
	v_mad_u64_u32 v[3:4], s[0:1], s28, v6, 0
	v_add3_u32 v4, v4, v11, v10
	v_sub_u32_e32 v10, v8, v4
	v_mov_b32_e32 v11, s29
	v_sub_co_u32_e32 v3, vcc, v7, v3
	v_subb_co_u32_e64 v10, s[0:1], v10, v11, vcc
	v_subrev_co_u32_e64 v11, s[0:1], s28, v3
	v_subbrev_co_u32_e64 v10, s[0:1], 0, v10, s[0:1]
	v_cmp_le_u32_e64 s[0:1], s29, v10
	v_cndmask_b32_e64 v12, 0, -1, s[0:1]
	v_cmp_le_u32_e64 s[0:1], s28, v11
	v_cndmask_b32_e64 v11, 0, -1, s[0:1]
	v_cmp_eq_u32_e64 s[0:1], s29, v10
	v_cndmask_b32_e64 v10, v12, v11, s[0:1]
	v_add_co_u32_e64 v11, s[0:1], 2, v6
	v_addc_co_u32_e64 v12, s[0:1], 0, v9, s[0:1]
	v_add_co_u32_e64 v13, s[0:1], 1, v6
	v_addc_co_u32_e64 v14, s[0:1], 0, v9, s[0:1]
	v_subb_co_u32_e32 v4, vcc, v8, v4, vcc
	v_cmp_ne_u32_e64 s[0:1], 0, v10
	v_cmp_le_u32_e32 vcc, s29, v4
	v_cndmask_b32_e64 v10, v14, v12, s[0:1]
	v_cndmask_b32_e64 v12, 0, -1, vcc
	v_cmp_le_u32_e32 vcc, s28, v3
	v_cndmask_b32_e64 v3, 0, -1, vcc
	v_cmp_eq_u32_e32 vcc, s29, v4
	v_cndmask_b32_e32 v3, v12, v3, vcc
	v_cmp_ne_u32_e32 vcc, 0, v3
	v_cndmask_b32_e64 v3, v13, v11, s[0:1]
	v_cndmask_b32_e32 v4, v9, v10, vcc
	v_cndmask_b32_e32 v3, v6, v3, vcc
.LBB0_4:                                ;   in Loop: Header=BB0_2 Depth=1
	s_andn2_saveexec_b64 s[0:1], s[30:31]
	s_cbranch_execz .LBB0_6
; %bb.5:                                ;   in Loop: Header=BB0_2 Depth=1
	v_cvt_f32_u32_e32 v3, s28
	s_sub_i32 s30, 0, s28
	v_rcp_iflag_f32_e32 v3, v3
	v_mul_f32_e32 v3, 0x4f7ffffe, v3
	v_cvt_u32_f32_e32 v3, v3
	v_mul_lo_u32 v4, s30, v3
	v_mul_hi_u32 v4, v3, v4
	v_add_u32_e32 v3, v3, v4
	v_mul_hi_u32 v3, v7, v3
	v_mul_lo_u32 v4, v3, s28
	v_add_u32_e32 v6, 1, v3
	v_sub_u32_e32 v4, v7, v4
	v_subrev_u32_e32 v9, s28, v4
	v_cmp_le_u32_e32 vcc, s28, v4
	v_cndmask_b32_e32 v4, v4, v9, vcc
	v_cndmask_b32_e32 v3, v3, v6, vcc
	v_add_u32_e32 v6, 1, v3
	v_cmp_le_u32_e32 vcc, s28, v4
	v_cndmask_b32_e32 v3, v3, v6, vcc
	v_mov_b32_e32 v4, v5
.LBB0_6:                                ;   in Loop: Header=BB0_2 Depth=1
	s_or_b64 exec, exec, s[0:1]
	v_mul_lo_u32 v6, v4, s28
	v_mul_lo_u32 v11, v3, s29
	v_mad_u64_u32 v[9:10], s[0:1], v3, s28, 0
	s_load_dwordx2 s[0:1], s[22:23], 0x0
	s_load_dwordx2 s[28:29], s[6:7], 0x0
	v_add3_u32 v6, v10, v11, v6
	v_sub_co_u32_e32 v7, vcc, v7, v9
	v_subb_co_u32_e32 v6, vcc, v8, v6, vcc
	s_waitcnt lgkmcnt(0)
	v_mul_lo_u32 v8, s0, v6
	v_mul_lo_u32 v9, s1, v7
	v_mad_u64_u32 v[64:65], s[0:1], s0, v7, v[64:65]
	v_mul_lo_u32 v6, s28, v6
	v_mul_lo_u32 v10, s29, v7
	v_mad_u64_u32 v[1:2], s[0:1], s28, v7, v[1:2]
	s_add_u32 s26, s26, 1
	s_addc_u32 s27, s27, 0
	s_add_u32 s6, s6, 8
	v_add3_u32 v2, v10, v2, v6
	s_addc_u32 s7, s7, 0
	v_mov_b32_e32 v6, s14
	s_add_u32 s22, s22, 8
	v_mov_b32_e32 v7, s15
	s_addc_u32 s23, s23, 0
	v_cmp_ge_u64_e32 vcc, s[26:27], v[6:7]
	s_add_u32 s24, s24, 8
	v_add3_u32 v65, v9, v65, v8
	s_addc_u32 s25, s25, 0
	s_cbranch_vccnz .LBB0_8
; %bb.7:                                ;   in Loop: Header=BB0_2 Depth=1
	v_mov_b32_e32 v8, v4
	v_mov_b32_e32 v7, v3
	s_branch .LBB0_2
.LBB0_8:
	s_load_dwordx2 s[0:1], s[4:5], 0x28
	s_lshl_b64 s[14:15], s[14:15], 3
	s_add_u32 s4, s18, s14
	s_addc_u32 s5, s19, s15
                                        ; implicit-def: $vgpr67
                                        ; implicit-def: $vgpr69
                                        ; implicit-def: $vgpr72
                                        ; implicit-def: $vgpr70
                                        ; implicit-def: $vgpr75
                                        ; implicit-def: $vgpr76
                                        ; implicit-def: $vgpr68
                                        ; implicit-def: $vgpr73
                                        ; implicit-def: $vgpr71
                                        ; implicit-def: $vgpr74
                                        ; implicit-def: $vgpr77
	s_waitcnt lgkmcnt(0)
	v_cmp_gt_u64_e32 vcc, s[0:1], v[3:4]
	v_cmp_le_u64_e64 s[0:1], s[0:1], v[3:4]
	s_and_saveexec_b64 s[6:7], s[0:1]
	s_xor_b64 s[0:1], exec, s[6:7]
	s_cbranch_execz .LBB0_10
; %bb.9:
	s_mov_b32 s6, 0x33333334
	v_mul_hi_u32 v5, v0, s6
                                        ; implicit-def: $vgpr64_vgpr65
	v_mul_u32_u24_e32 v5, 5, v5
	v_sub_u32_e32 v67, v0, v5
	v_add_u32_e32 v69, 5, v67
	v_add_u32_e32 v72, 10, v67
	;; [unrolled: 1-line block ×4, first 2 shown]
	v_or_b32_e32 v76, 40, v67
	v_add_u32_e32 v68, 15, v67
	v_add_u32_e32 v73, 45, v67
	;; [unrolled: 1-line block ×4, first 2 shown]
	v_or_b32_e32 v77, 0x50, v67
                                        ; implicit-def: $vgpr0
.LBB0_10:
	s_or_saveexec_b64 s[6:7], s[0:1]
                                        ; implicit-def: $vgpr16
                                        ; implicit-def: $vgpr18
                                        ; implicit-def: $vgpr12
                                        ; implicit-def: $vgpr20
                                        ; implicit-def: $vgpr14
                                        ; implicit-def: $vgpr24
                                        ; implicit-def: $vgpr61
                                        ; implicit-def: $vgpr22
                                        ; implicit-def: $vgpr8
                                        ; implicit-def: $vgpr6
                                        ; implicit-def: $vgpr33
                                        ; implicit-def: $vgpr39
                                        ; implicit-def: $vgpr35
                                        ; implicit-def: $vgpr43
                                        ; implicit-def: $vgpr37
                                        ; implicit-def: $vgpr31
                                        ; implicit-def: $vgpr63
                                        ; implicit-def: $vgpr29
                                        ; implicit-def: $vgpr26
                                        ; implicit-def: $vgpr10
                                        ; implicit-def: $vgpr47
                                        ; implicit-def: $vgpr53
                                        ; implicit-def: $vgpr49
                                        ; implicit-def: $vgpr55
                                        ; implicit-def: $vgpr51
                                        ; implicit-def: $vgpr59
                                        ; implicit-def: $vgpr66
                                        ; implicit-def: $vgpr57
                                        ; implicit-def: $vgpr45
                                        ; implicit-def: $vgpr41
	s_xor_b64 exec, exec, s[6:7]
	s_cbranch_execz .LBB0_12
; %bb.11:
	s_add_u32 s0, s16, s14
	s_mov_b32 s14, 0x33333334
	v_mul_hi_u32 v5, v0, s14
	s_addc_u32 s1, s17, s15
	s_load_dwordx2 s[0:1], s[0:1], 0x0
	v_mul_u32_u24_e32 v5, 5, v5
	v_sub_u32_e32 v67, v0, v5
	v_mad_u64_u32 v[5:6], s[14:15], s20, v67, 0
	s_waitcnt lgkmcnt(0)
	v_mul_lo_u32 v11, s1, v3
	v_mul_lo_u32 v12, s0, v4
	v_mad_u64_u32 v[7:8], s[0:1], s0, v3, 0
	v_mov_b32_e32 v0, v6
	v_mad_u64_u32 v[9:10], s[0:1], s21, v67, v[0:1]
	v_add3_u32 v8, v8, v12, v11
	v_lshlrev_b64 v[7:8], 3, v[7:8]
	v_mov_b32_e32 v0, s9
	v_add_co_u32_e64 v11, s[0:1], s8, v7
	v_add_u32_e32 v68, 15, v67
	v_mov_b32_e32 v6, v9
	v_addc_co_u32_e64 v12, s[0:1], v0, v8, s[0:1]
	v_mad_u64_u32 v[9:10], s[0:1], s20, v68, 0
	v_lshlrev_b64 v[7:8], 3, v[64:65]
	v_add_u32_e32 v70, 30, v67
	v_add_co_u32_e64 v0, s[0:1], v11, v7
	v_addc_co_u32_e64 v7, s[0:1], v12, v8, s[0:1]
	v_mov_b32_e32 v8, v10
	v_mad_u64_u32 v[10:11], s[0:1], s21, v68, v[8:9]
	v_mad_u64_u32 v[11:12], s[0:1], s20, v70, 0
	v_lshlrev_b64 v[5:6], 3, v[5:6]
	v_lshlrev_b64 v[8:9], 3, v[9:10]
	v_add_co_u32_e64 v5, s[0:1], v0, v5
	v_mov_b32_e32 v10, v12
	v_addc_co_u32_e64 v6, s[0:1], v7, v6, s[0:1]
	v_mad_u64_u32 v[12:13], s[0:1], s21, v70, v[10:11]
	v_add_u32_e32 v73, 45, v67
	v_mad_u64_u32 v[13:14], s[0:1], s20, v73, 0
	v_add_co_u32_e64 v15, s[0:1], v0, v8
	v_mov_b32_e32 v10, v14
	v_addc_co_u32_e64 v16, s[0:1], v7, v9, s[0:1]
	v_lshlrev_b64 v[8:9], 3, v[11:12]
	v_mad_u64_u32 v[10:11], s[0:1], s21, v73, v[10:11]
	v_add_u32_e32 v19, 60, v67
	v_mad_u64_u32 v[11:12], s[0:1], s20, v19, 0
	v_add_co_u32_e64 v17, s[0:1], v0, v8
	v_mov_b32_e32 v14, v10
	v_mov_b32_e32 v10, v12
	v_addc_co_u32_e64 v18, s[0:1], v7, v9, s[0:1]
	v_lshlrev_b64 v[8:9], 3, v[13:14]
	v_mad_u64_u32 v[12:13], s[0:1], s21, v19, v[10:11]
	v_add_u32_e32 v21, 0x4b, v67
	v_mad_u64_u32 v[13:14], s[0:1], s20, v21, 0
	v_add_co_u32_e64 v19, s[0:1], v0, v8
	v_mov_b32_e32 v10, v14
	v_addc_co_u32_e64 v20, s[0:1], v7, v9, s[0:1]
	v_lshlrev_b64 v[8:9], 3, v[11:12]
	v_mad_u64_u32 v[10:11], s[0:1], s21, v21, v[10:11]
	v_add_u32_e32 v23, 0x5a, v67
	v_mad_u64_u32 v[11:12], s[0:1], s20, v23, 0
	v_add_co_u32_e64 v21, s[0:1], v0, v8
	v_mov_b32_e32 v14, v10
	v_mov_b32_e32 v10, v12
	v_addc_co_u32_e64 v22, s[0:1], v7, v9, s[0:1]
	v_lshlrev_b64 v[8:9], 3, v[13:14]
	v_mad_u64_u32 v[12:13], s[0:1], s21, v23, v[10:11]
	v_add_u32_e32 v25, 0x69, v67
	v_mad_u64_u32 v[13:14], s[0:1], s20, v25, 0
	v_add_co_u32_e64 v23, s[0:1], v0, v8
	v_mov_b32_e32 v10, v14
	v_addc_co_u32_e64 v24, s[0:1], v7, v9, s[0:1]
	v_lshlrev_b64 v[8:9], 3, v[11:12]
	v_mad_u64_u32 v[10:11], s[0:1], s21, v25, v[10:11]
	v_or_b32_e32 v25, 0x78, v67
	v_mad_u64_u32 v[11:12], s[0:1], s20, v25, 0
	v_add_co_u32_e64 v32, s[0:1], v0, v8
	v_mov_b32_e32 v14, v10
	v_mov_b32_e32 v10, v12
	v_addc_co_u32_e64 v33, s[0:1], v7, v9, s[0:1]
	v_lshlrev_b64 v[8:9], 3, v[13:14]
	v_mad_u64_u32 v[12:13], s[0:1], s21, v25, v[10:11]
	v_add_u32_e32 v25, 0x87, v67
	v_mad_u64_u32 v[13:14], s[0:1], s20, v25, 0
	v_add_co_u32_e64 v34, s[0:1], v0, v8
	v_mov_b32_e32 v10, v14
	v_addc_co_u32_e64 v35, s[0:1], v7, v9, s[0:1]
	v_lshlrev_b64 v[8:9], 3, v[11:12]
	v_mad_u64_u32 v[10:11], s[0:1], s21, v25, v[10:11]
	v_add_u32_e32 v69, 5, v67
	v_mad_u64_u32 v[11:12], s[0:1], s20, v69, 0
	v_add_co_u32_e64 v36, s[0:1], v0, v8
	v_mov_b32_e32 v14, v10
	v_mov_b32_e32 v10, v12
	v_addc_co_u32_e64 v37, s[0:1], v7, v9, s[0:1]
	v_lshlrev_b64 v[8:9], 3, v[13:14]
	v_mad_u64_u32 v[12:13], s[0:1], s21, v69, v[10:11]
	v_add_u32_e32 v71, 20, v67
	v_mad_u64_u32 v[13:14], s[0:1], s20, v71, 0
	v_add_co_u32_e64 v38, s[0:1], v0, v8
	v_mov_b32_e32 v10, v14
	v_addc_co_u32_e64 v39, s[0:1], v7, v9, s[0:1]
	v_lshlrev_b64 v[8:9], 3, v[11:12]
	v_mad_u64_u32 v[10:11], s[0:1], s21, v71, v[10:11]
	v_add_u32_e32 v75, 35, v67
	;; [unrolled: 15-line block ×3, first 2 shown]
	v_mad_u64_u32 v[11:12], s[0:1], s20, v25, 0
	v_add_co_u32_e64 v78, s[0:1], v0, v8
	v_mov_b32_e32 v14, v10
	v_mov_b32_e32 v10, v12
	v_addc_co_u32_e64 v79, s[0:1], v7, v9, s[0:1]
	v_lshlrev_b64 v[8:9], 3, v[13:14]
	v_mad_u64_u32 v[12:13], s[0:1], s21, v25, v[10:11]
	v_or_b32_e32 v77, 0x50, v67
	v_mad_u64_u32 v[13:14], s[0:1], s20, v77, 0
	v_add_co_u32_e64 v80, s[0:1], v0, v8
	v_mov_b32_e32 v10, v14
	v_addc_co_u32_e64 v81, s[0:1], v7, v9, s[0:1]
	v_lshlrev_b64 v[8:9], 3, v[11:12]
	v_mad_u64_u32 v[10:11], s[0:1], s21, v77, v[10:11]
	v_add_u32_e32 v25, 0x5f, v67
	v_mad_u64_u32 v[11:12], s[0:1], s20, v25, 0
	v_add_co_u32_e64 v82, s[0:1], v0, v8
	v_mov_b32_e32 v14, v10
	v_mov_b32_e32 v10, v12
	v_addc_co_u32_e64 v83, s[0:1], v7, v9, s[0:1]
	v_lshlrev_b64 v[8:9], 3, v[13:14]
	v_mad_u64_u32 v[12:13], s[0:1], s21, v25, v[10:11]
	v_add_u32_e32 v25, 0x6e, v67
	v_mad_u64_u32 v[13:14], s[0:1], s20, v25, 0
	v_add_co_u32_e64 v84, s[0:1], v0, v8
	v_mov_b32_e32 v10, v14
	v_addc_co_u32_e64 v85, s[0:1], v7, v9, s[0:1]
	v_lshlrev_b64 v[8:9], 3, v[11:12]
	v_mad_u64_u32 v[10:11], s[0:1], s21, v25, v[10:11]
	v_add_u32_e32 v25, 0x7d, v67
	v_mad_u64_u32 v[11:12], s[0:1], s20, v25, 0
	v_add_co_u32_e64 v86, s[0:1], v0, v8
	v_mov_b32_e32 v14, v10
	v_mov_b32_e32 v10, v12
	v_addc_co_u32_e64 v87, s[0:1], v7, v9, s[0:1]
	v_lshlrev_b64 v[8:9], 3, v[13:14]
	v_mad_u64_u32 v[12:13], s[0:1], s21, v25, v[10:11]
	v_add_u32_e32 v25, 0x8c, v67
	v_mad_u64_u32 v[13:14], s[0:1], s20, v25, 0
	v_add_co_u32_e64 v88, s[0:1], v0, v8
	v_mov_b32_e32 v10, v14
	v_addc_co_u32_e64 v89, s[0:1], v7, v9, s[0:1]
	v_lshlrev_b64 v[8:9], 3, v[11:12]
	v_mad_u64_u32 v[10:11], s[0:1], s21, v25, v[10:11]
	v_add_u32_e32 v72, 10, v67
	v_mad_u64_u32 v[11:12], s[0:1], s20, v72, 0
	v_add_co_u32_e64 v90, s[0:1], v0, v8
	v_mov_b32_e32 v14, v10
	v_mov_b32_e32 v10, v12
	v_addc_co_u32_e64 v91, s[0:1], v7, v9, s[0:1]
	v_lshlrev_b64 v[8:9], 3, v[13:14]
	v_mad_u64_u32 v[12:13], s[0:1], s21, v72, v[10:11]
	v_add_u32_e32 v74, 25, v67
	v_mad_u64_u32 v[13:14], s[0:1], s20, v74, 0
	v_add_co_u32_e64 v92, s[0:1], v0, v8
	v_mov_b32_e32 v10, v14
	v_addc_co_u32_e64 v93, s[0:1], v7, v9, s[0:1]
	v_lshlrev_b64 v[8:9], 3, v[11:12]
	v_mad_u64_u32 v[10:11], s[0:1], s21, v74, v[10:11]
	v_or_b32_e32 v76, 40, v67
	v_mad_u64_u32 v[11:12], s[0:1], s20, v76, 0
	v_add_co_u32_e64 v94, s[0:1], v0, v8
	v_mov_b32_e32 v14, v10
	v_mov_b32_e32 v10, v12
	v_addc_co_u32_e64 v95, s[0:1], v7, v9, s[0:1]
	v_lshlrev_b64 v[8:9], 3, v[13:14]
	v_mad_u64_u32 v[12:13], s[0:1], s21, v76, v[10:11]
	v_add_u32_e32 v25, 55, v67
	v_mad_u64_u32 v[13:14], s[0:1], s20, v25, 0
	v_add_co_u32_e64 v96, s[0:1], v0, v8
	v_mov_b32_e32 v10, v14
	v_addc_co_u32_e64 v97, s[0:1], v7, v9, s[0:1]
	v_lshlrev_b64 v[8:9], 3, v[11:12]
	v_mad_u64_u32 v[10:11], s[0:1], s21, v25, v[10:11]
	v_add_u32_e32 v25, 0x46, v67
	v_mad_u64_u32 v[11:12], s[0:1], s20, v25, 0
	v_add_co_u32_e64 v98, s[0:1], v0, v8
	v_mov_b32_e32 v14, v10
	v_mov_b32_e32 v10, v12
	v_addc_co_u32_e64 v99, s[0:1], v7, v9, s[0:1]
	v_lshlrev_b64 v[8:9], 3, v[13:14]
	v_mad_u64_u32 v[12:13], s[0:1], s21, v25, v[10:11]
	v_add_u32_e32 v25, 0x55, v67
	v_mad_u64_u32 v[13:14], s[0:1], s20, v25, 0
	v_add_co_u32_e64 v100, s[0:1], v0, v8
	v_mov_b32_e32 v10, v14
	v_addc_co_u32_e64 v101, s[0:1], v7, v9, s[0:1]
	v_lshlrev_b64 v[8:9], 3, v[11:12]
	v_mad_u64_u32 v[10:11], s[0:1], s21, v25, v[10:11]
	v_add_u32_e32 v25, 0x64, v67
	;; [unrolled: 15-line block ×3, first 2 shown]
	v_mad_u64_u32 v[11:12], s[0:1], s20, v25, 0
	v_add_co_u32_e64 v106, s[0:1], v0, v8
	v_mov_b32_e32 v14, v10
	v_mov_b32_e32 v10, v12
	v_addc_co_u32_e64 v107, s[0:1], v7, v9, s[0:1]
	v_lshlrev_b64 v[8:9], 3, v[13:14]
	v_mad_u64_u32 v[12:13], s[0:1], s21, v25, v[10:11]
	v_add_u32_e32 v25, 0x91, v67
	v_mad_u64_u32 v[13:14], s[0:1], s20, v25, 0
	v_add_co_u32_e64 v108, s[0:1], v0, v8
	v_mov_b32_e32 v10, v14
	v_addc_co_u32_e64 v109, s[0:1], v7, v9, s[0:1]
	v_lshlrev_b64 v[8:9], 3, v[11:12]
	v_mad_u64_u32 v[10:11], s[0:1], s21, v25, v[10:11]
	v_add_co_u32_e64 v110, s[0:1], v0, v8
	v_mov_b32_e32 v14, v10
	v_addc_co_u32_e64 v111, s[0:1], v7, v9, s[0:1]
	v_lshlrev_b64 v[8:9], 3, v[13:14]
	v_add_co_u32_e64 v112, s[0:1], v0, v8
	v_addc_co_u32_e64 v113, s[0:1], v7, v9, s[0:1]
	global_load_dwordx2 v[40:41], v[5:6], off
	global_load_dwordx2 v[44:45], v[15:16], off
	;; [unrolled: 1-line block ×15, first 2 shown]
                                        ; kill: killed $vgpr38 killed $vgpr39
                                        ; kill: killed $vgpr21 killed $vgpr22
                                        ; kill: killed $vgpr78 killed $vgpr79
                                        ; kill: killed $vgpr15 killed $vgpr16
                                        ; kill: killed $vgpr32 killed $vgpr33
                                        ; kill: killed $vgpr17 killed $vgpr18
                                        ; kill: killed $vgpr82 killed $vgpr83
                                        ; kill: killed $vgpr36 killed $vgpr37
                                        ; kill: killed $vgpr19 killed $vgpr20
                                        ; kill: killed $vgpr23 killed $vgpr24
                                        ; kill: killed $vgpr80 killed $vgpr81
                                        ; kill: killed $vgpr42 killed $vgpr43
                                        ; kill: killed $vgpr34 killed $vgpr35
                                        ; kill: killed $vgpr60 killed $vgpr61
                                        ; kill: killed $vgpr5 killed $vgpr6
	global_load_dwordx2 v[36:37], v[84:85], off
	global_load_dwordx2 v[42:43], v[86:87], off
	global_load_dwordx2 v[34:35], v[88:89], off
	global_load_dwordx2 v[38:39], v[90:91], off
	global_load_dwordx2 v[32:33], v[92:93], off
	global_load_dwordx2 v[5:6], v[94:95], off
	global_load_dwordx2 v[7:8], v[96:97], off
	global_load_dwordx2 v[21:22], v[98:99], off
	global_load_dwordx2 v[60:61], v[100:101], off
	global_load_dwordx2 v[23:24], v[102:103], off
	global_load_dwordx2 v[13:14], v[104:105], off
	global_load_dwordx2 v[19:20], v[106:107], off
	global_load_dwordx2 v[11:12], v[108:109], off
	global_load_dwordx2 v[17:18], v[110:111], off
	global_load_dwordx2 v[15:16], v[112:113], off
.LBB0_12:
	s_or_b64 exec, exec, s[6:7]
	s_mov_b32 s0, 0xaaaaaaab
	v_mul_hi_u32 v0, v27, s0
	s_waitcnt vmcnt(25)
	v_sub_f32_e32 v64, v56, v58
	s_waitcnt vmcnt(21)
	v_sub_f32_e32 v78, v52, v54
	v_add_f32_e32 v79, v54, v58
	v_lshrrev_b32_e32 v0, 3, v0
	v_mul_lo_u32 v0, v0, 12
	v_add_f32_e32 v82, v78, v64
	v_add_f32_e32 v90, v56, v40
	v_fma_f32 v81, -0.5, v79, v40
	v_sub_u32_e32 v64, v27, v0
	v_add_f32_e32 v0, v52, v56
	v_fmac_f32_e32 v40, -0.5, v0
	v_sub_f32_e32 v83, v59, v55
	v_mov_b32_e32 v84, v40
	v_sub_f32_e32 v0, v58, v56
	v_sub_f32_e32 v27, v54, v52
	v_fmac_f32_e32 v84, 0xbf737871, v83
	v_sub_f32_e32 v85, v57, v53
	v_fmac_f32_e32 v40, 0x3f737871, v83
	v_add_f32_e32 v0, v27, v0
	v_fmac_f32_e32 v84, 0x3f167918, v85
	v_fmac_f32_e32 v40, 0xbf167918, v85
	v_fmac_f32_e32 v84, 0x3e9e377a, v0
	v_fmac_f32_e32 v40, 0x3e9e377a, v0
	v_sub_f32_e32 v0, v65, v50
	s_waitcnt vmcnt(20)
	v_sub_f32_e32 v27, v46, v48
	v_add_f32_e32 v86, v27, v0
	v_add_f32_e32 v0, v48, v50
	v_fma_f32 v78, -0.5, v0, v44
	v_add_f32_e32 v0, v46, v65
	v_add_f32_e32 v91, v65, v44
	v_fmac_f32_e32 v44, -0.5, v0
	v_sub_f32_e32 v0, v50, v65
	v_sub_f32_e32 v27, v48, v46
	v_add_f32_e32 v27, v27, v0
	v_sub_f32_e32 v87, v51, v49
	v_mov_b32_e32 v0, v44
	v_fmac_f32_e32 v0, 0xbf737871, v87
	v_sub_f32_e32 v88, v66, v47
	v_fmac_f32_e32 v44, 0x3f737871, v87
	v_fmac_f32_e32 v0, 0x3f167918, v88
	;; [unrolled: 1-line block ×5, first 2 shown]
	v_sub_f32_e32 v27, v66, v51
	v_sub_f32_e32 v79, v47, v49
	v_add_f32_e32 v89, v79, v27
	v_add_f32_e32 v27, v49, v51
	v_fma_f32 v79, -0.5, v27, v45
	v_add_f32_e32 v27, v47, v66
	v_sub_f32_e32 v93, v50, v48
	v_add_f32_e32 v50, v50, v91
	v_add_f32_e32 v80, v66, v45
	v_fmac_f32_e32 v45, -0.5, v27
	v_sub_f32_e32 v92, v65, v46
	v_sub_f32_e32 v27, v51, v66
	;; [unrolled: 1-line block ×3, first 2 shown]
	v_add_f32_e32 v48, v48, v50
	v_add_f32_e32 v65, v65, v27
	v_mov_b32_e32 v27, v45
	v_add_f32_e32 v50, v46, v48
	v_mov_b32_e32 v46, v78
	v_fmac_f32_e32 v27, 0x3f737871, v93
	v_fmac_f32_e32 v45, 0xbf737871, v93
	;; [unrolled: 1-line block ×3, first 2 shown]
	v_mov_b32_e32 v48, v79
	v_fmac_f32_e32 v27, 0xbf167918, v92
	v_fmac_f32_e32 v45, 0x3f167918, v92
	v_mov_b32_e32 v95, v81
	v_fmac_f32_e32 v46, 0x3f167918, v87
	v_fmac_f32_e32 v48, 0xbf737871, v92
	;; [unrolled: 1-line block ×4, first 2 shown]
	v_mul_u32_u24_e32 v64, 0x96, v64
	v_add_f32_e32 v65, v58, v90
	v_fmac_f32_e32 v95, 0x3f737871, v85
	v_fmac_f32_e32 v46, 0x3e9e377a, v86
	;; [unrolled: 1-line block ×4, first 2 shown]
	v_add_f32_e32 v65, v54, v65
	s_mov_b32 s0, 0x3f737871
	v_fmac_f32_e32 v95, 0x3f167918, v83
	v_fmac_f32_e32 v48, 0x3e9e377a, v89
	v_mul_f32_e32 v96, 0x3f4f1bbd, v46
	v_mul_f32_e32 v97, 0x3e9e377a, v0
	;; [unrolled: 1-line block ×3, first 2 shown]
	v_lshlrev_b32_e32 v99, 2, v64
	v_fmac_f32_e32 v81, 0xbf737871, v85
	v_fmac_f32_e32 v78, 0xbf167918, v87
	;; [unrolled: 1-line block ×3, first 2 shown]
	v_add_f32_e32 v94, v52, v65
	v_fmac_f32_e32 v95, 0x3e9e377a, v82
	v_fmac_f32_e32 v96, 0x3f167918, v48
	v_fmac_f32_e32 v97, 0x3f737871, v27
	v_fma_f32 v98, v45, s0, -v90
	v_mul_u32_u24_e32 v100, 10, v67
	v_add_u32_e32 v64, 0, v99
	v_fmac_f32_e32 v81, 0xbf167918, v83
	v_fmac_f32_e32 v78, 0x3e9e377a, v86
	;; [unrolled: 1-line block ×3, first 2 shown]
	v_add_f32_e32 v65, v50, v94
	v_add_f32_e32 v66, v95, v96
	;; [unrolled: 1-line block ×4, first 2 shown]
	v_lshl_add_u32 v100, v100, 2, v64
	v_fmac_f32_e32 v81, 0x3e9e377a, v82
	v_fmac_f32_e32 v79, 0x3e9e377a, v89
	s_mov_b32 s1, 0x3f167918
	v_mul_f32_e32 v82, 0x3f4f1bbd, v78
	ds_write2_b64 v100, v[65:66], v[90:91] offset1:1
	v_sub_f32_e32 v66, v84, v97
	v_fma_f32 v84, v79, s1, -v82
	v_sub_f32_e32 v65, v95, v96
	v_sub_f32_e32 v83, v94, v50
	v_add_f32_e32 v82, v81, v84
	ds_write2_b64 v100, v[82:83], v[65:66] offset0:2 offset1:3
	v_sub_f32_e32 v66, v81, v84
	v_sub_f32_e32 v65, v40, v98
	s_waitcnt vmcnt(15)
	v_sub_f32_e32 v40, v28, v30
	s_waitcnt vmcnt(11)
	v_sub_f32_e32 v50, v38, v42
	ds_write_b64 v100, v[65:66] offset:32
	v_add_f32_e32 v40, v50, v40
	v_add_f32_e32 v50, v42, v30
	;; [unrolled: 1-line block ×3, first 2 shown]
	v_fma_f32 v50, -0.5, v50, v9
	v_add_f32_e32 v65, v28, v9
	v_fmac_f32_e32 v9, -0.5, v66
	v_sub_f32_e32 v66, v30, v28
	v_sub_f32_e32 v81, v42, v38
	v_add_f32_e32 v66, v81, v66
	v_sub_f32_e32 v81, v31, v43
	v_mov_b32_e32 v82, v9
	v_fmac_f32_e32 v82, 0xbf737871, v81
	v_sub_f32_e32 v83, v29, v39
	v_fmac_f32_e32 v9, 0x3f737871, v81
	v_fmac_f32_e32 v82, 0x3f167918, v83
	;; [unrolled: 1-line block ×5, first 2 shown]
	v_sub_f32_e32 v66, v62, v36
	s_waitcnt vmcnt(10)
	v_sub_f32_e32 v84, v32, v34
	v_add_f32_e32 v84, v84, v66
	v_add_f32_e32 v66, v34, v36
	;; [unrolled: 1-line block ×3, first 2 shown]
	v_fma_f32 v87, -0.5, v66, v25
	v_add_f32_e32 v66, v62, v25
	v_fmac_f32_e32 v25, -0.5, v85
	v_sub_f32_e32 v85, v36, v62
	v_sub_f32_e32 v86, v34, v32
	v_add_f32_e32 v85, v86, v85
	v_sub_f32_e32 v86, v37, v35
	v_mov_b32_e32 v91, v25
	v_fmac_f32_e32 v91, 0xbf737871, v86
	v_sub_f32_e32 v88, v63, v33
	v_fmac_f32_e32 v25, 0x3f737871, v86
	v_fmac_f32_e32 v91, 0x3f167918, v88
	;; [unrolled: 1-line block ×5, first 2 shown]
	v_sub_f32_e32 v85, v63, v37
	v_sub_f32_e32 v89, v33, v35
	v_add_f32_e32 v85, v89, v85
	v_add_f32_e32 v89, v35, v37
	v_fma_f32 v92, -0.5, v89, v26
	v_add_f32_e32 v89, v33, v63
	v_add_f32_e32 v93, v63, v26
	v_fmac_f32_e32 v26, -0.5, v89
	v_sub_f32_e32 v90, v36, v34
	v_mov_b32_e32 v94, v26
	v_mov_b32_e32 v97, v87
	v_sub_f32_e32 v89, v62, v32
	v_sub_f32_e32 v62, v37, v63
	;; [unrolled: 1-line block ×3, first 2 shown]
	v_fmac_f32_e32 v94, 0x3f737871, v90
	v_fmac_f32_e32 v26, 0xbf737871, v90
	;; [unrolled: 1-line block ×3, first 2 shown]
	v_mov_b32_e32 v98, v92
	v_add_f32_e32 v62, v63, v62
	v_fmac_f32_e32 v94, 0xbf167918, v89
	v_fmac_f32_e32 v26, 0x3f167918, v89
	v_mov_b32_e32 v96, v50
	v_add_f32_e32 v36, v36, v66
	v_fmac_f32_e32 v97, 0x3f167918, v86
	v_fmac_f32_e32 v98, 0xbf737871, v89
	;; [unrolled: 1-line block ×4, first 2 shown]
	v_add_f32_e32 v62, v30, v65
	v_fmac_f32_e32 v96, 0x3f737871, v83
	v_add_f32_e32 v34, v34, v36
	v_fmac_f32_e32 v97, 0x3e9e377a, v84
	v_fmac_f32_e32 v98, 0xbf167918, v90
	v_add_f32_e32 v62, v42, v62
	v_fmac_f32_e32 v96, 0x3f167918, v81
	v_add_f32_e32 v32, v32, v34
	v_fmac_f32_e32 v98, 0x3e9e377a, v85
	v_mul_f32_e32 v34, 0x3f4f1bbd, v97
	v_mul_f32_e32 v36, 0x3e9e377a, v91
	;; [unrolled: 1-line block ×3, first 2 shown]
	v_fmac_f32_e32 v87, 0xbf737871, v88
	v_add_f32_e32 v95, v38, v62
	v_fmac_f32_e32 v96, 0x3e9e377a, v40
	v_fmac_f32_e32 v34, 0x3f167918, v98
	;; [unrolled: 1-line block ×3, first 2 shown]
	v_fma_f32 v101, v26, s0, -v65
	v_mul_i32_i24_e32 v102, 10, v69
	v_fmac_f32_e32 v87, 0xbf167918, v86
	v_fmac_f32_e32 v92, 0x3f737871, v89
	v_add_f32_e32 v62, v32, v95
	v_add_f32_e32 v63, v96, v34
	v_add_f32_e32 v65, v82, v36
	v_add_f32_e32 v66, v9, v101
	v_lshl_add_u32 v102, v102, 2, v64
	v_fmac_f32_e32 v50, 0xbf737871, v83
	v_fmac_f32_e32 v87, 0x3e9e377a, v84
	;; [unrolled: 1-line block ×3, first 2 shown]
	ds_write2_b64 v102, v[62:63], v[65:66] offset1:1
	v_sub_f32_e32 v62, v96, v34
	v_fmac_f32_e32 v50, 0xbf167918, v81
	v_fmac_f32_e32 v92, 0x3e9e377a, v85
	v_mul_f32_e32 v34, 0x3f4f1bbd, v87
	v_fmac_f32_e32 v50, 0x3e9e377a, v40
	v_fma_f32 v34, v92, s1, -v34
	v_sub_f32_e32 v63, v82, v36
	v_sub_f32_e32 v66, v95, v32
	v_add_f32_e32 v65, v50, v34
	ds_write2_b64 v102, v[65:66], v[62:63] offset0:2 offset1:3
	v_sub_f32_e32 v62, v9, v101
	s_waitcnt vmcnt(5)
	v_sub_f32_e32 v9, v21, v23
	s_waitcnt vmcnt(1)
	v_sub_f32_e32 v32, v17, v19
	v_add_f32_e32 v9, v32, v9
	v_add_f32_e32 v32, v19, v23
	;; [unrolled: 1-line block ×3, first 2 shown]
	v_sub_f32_e32 v63, v50, v34
	v_fma_f32 v32, -0.5, v32, v5
	v_add_f32_e32 v34, v21, v5
	v_fmac_f32_e32 v5, -0.5, v36
	v_sub_f32_e32 v36, v23, v21
	v_sub_f32_e32 v40, v19, v17
	v_add_f32_e32 v36, v40, v36
	v_sub_f32_e32 v40, v24, v20
	v_mov_b32_e32 v50, v5
	v_fmac_f32_e32 v50, 0xbf737871, v40
	v_sub_f32_e32 v65, v22, v18
	v_fmac_f32_e32 v5, 0x3f737871, v40
	v_fmac_f32_e32 v50, 0x3f167918, v65
	;; [unrolled: 1-line block ×3, first 2 shown]
	ds_write_b64 v102, v[62:63] offset:32
	v_fmac_f32_e32 v50, 0x3e9e377a, v36
	v_fmac_f32_e32 v5, 0x3e9e377a, v36
	v_sub_f32_e32 v36, v60, v13
	s_waitcnt vmcnt(0)
	v_sub_f32_e32 v62, v15, v11
	v_add_f32_e32 v36, v62, v36
	v_add_f32_e32 v62, v11, v13
	;; [unrolled: 1-line block ×3, first 2 shown]
	v_fma_f32 v82, -0.5, v62, v7
	v_add_f32_e32 v62, v60, v7
	v_fmac_f32_e32 v7, -0.5, v63
	v_sub_f32_e32 v63, v13, v60
	v_sub_f32_e32 v66, v11, v15
	v_add_f32_e32 v63, v66, v63
	v_sub_f32_e32 v66, v14, v12
	v_mov_b32_e32 v95, v7
	v_fmac_f32_e32 v95, 0xbf737871, v66
	v_sub_f32_e32 v81, v61, v16
	v_fmac_f32_e32 v7, 0x3f737871, v66
	v_fmac_f32_e32 v95, 0x3f167918, v81
	v_fmac_f32_e32 v7, 0xbf167918, v81
	v_fmac_f32_e32 v95, 0x3e9e377a, v63
	v_fmac_f32_e32 v7, 0x3e9e377a, v63
	v_sub_f32_e32 v63, v61, v14
	v_sub_f32_e32 v83, v16, v12
	v_add_f32_e32 v83, v83, v63
	v_add_f32_e32 v63, v12, v14
	v_fma_f32 v96, -0.5, v63, v8
	v_add_f32_e32 v63, v16, v61
	v_add_f32_e32 v101, v61, v8
	v_fmac_f32_e32 v8, -0.5, v63
	v_mov_b32_e32 v104, v82
	v_sub_f32_e32 v84, v60, v15
	v_sub_f32_e32 v85, v13, v11
	v_mov_b32_e32 v103, v8
	v_fmac_f32_e32 v104, 0x3f737871, v81
	v_mov_b32_e32 v105, v96
	v_sub_f32_e32 v60, v14, v61
	v_sub_f32_e32 v61, v12, v16
	v_fmac_f32_e32 v103, 0x3f737871, v85
	v_fmac_f32_e32 v8, 0xbf737871, v85
	v_mov_b32_e32 v86, v32
	v_add_f32_e32 v13, v13, v62
	v_fmac_f32_e32 v104, 0x3f167918, v66
	v_fmac_f32_e32 v105, 0xbf737871, v84
	v_add_f32_e32 v60, v61, v60
	v_fmac_f32_e32 v103, 0xbf167918, v84
	v_fmac_f32_e32 v8, 0x3f167918, v84
	v_add_f32_e32 v34, v23, v34
	v_fmac_f32_e32 v86, 0x3f737871, v65
	v_add_f32_e32 v11, v11, v13
	v_fmac_f32_e32 v104, 0x3e9e377a, v36
	v_fmac_f32_e32 v105, 0xbf167918, v85
	;; [unrolled: 1-line block ×4, first 2 shown]
	v_add_f32_e32 v34, v19, v34
	v_fmac_f32_e32 v86, 0x3f167918, v40
	v_add_f32_e32 v11, v15, v11
	v_fmac_f32_e32 v105, 0x3e9e377a, v83
	v_mul_f32_e32 v13, 0x3f4f1bbd, v104
	v_mul_f32_e32 v15, 0x3e9e377a, v95
	;; [unrolled: 1-line block ×3, first 2 shown]
	v_add_f32_e32 v34, v17, v34
	v_fmac_f32_e32 v86, 0x3e9e377a, v9
	v_fmac_f32_e32 v13, 0x3f167918, v105
	v_fmac_f32_e32 v15, 0x3f737871, v103
	v_fma_f32 v88, v8, s0, -v62
	v_mul_i32_i24_e32 v89, 10, v72
	v_fmac_f32_e32 v82, 0xbf737871, v81
	v_add_f32_e32 v60, v11, v34
	v_add_f32_e32 v61, v86, v13
	;; [unrolled: 1-line block ×4, first 2 shown]
	v_lshl_add_u32 v106, v89, 2, v64
	v_fmac_f32_e32 v32, 0xbf737871, v65
	v_fmac_f32_e32 v82, 0xbf167918, v66
	;; [unrolled: 1-line block ×3, first 2 shown]
	ds_write2_b64 v106, v[60:61], v[62:63] offset1:1
	v_fmac_f32_e32 v32, 0xbf167918, v40
	v_fmac_f32_e32 v82, 0x3e9e377a, v36
	v_fmac_f32_e32 v96, 0x3f167918, v85
	v_sub_f32_e32 v63, v34, v11
	v_add_f32_e32 v11, v57, v41
	v_fmac_f32_e32 v32, 0x3e9e377a, v9
	v_fmac_f32_e32 v96, 0x3e9e377a, v83
	v_mul_f32_e32 v9, 0x3f4f1bbd, v82
	v_add_f32_e32 v11, v59, v11
	v_sub_f32_e32 v60, v86, v13
	v_fma_f32 v9, v96, s1, -v9
	v_add_f32_e32 v13, v55, v59
	v_add_f32_e32 v36, v53, v57
	;; [unrolled: 1-line block ×3, first 2 shown]
	v_sub_f32_e32 v61, v50, v15
	v_add_f32_e32 v62, v32, v9
	v_add_f32_e32 v108, v53, v11
	;; [unrolled: 1-line block ×3, first 2 shown]
	v_fma_f32 v112, -0.5, v13, v41
	v_fmac_f32_e32 v41, -0.5, v36
	ds_write2_b64 v106, v[62:63], v[60:61] offset0:2 offset1:3
	v_sub_f32_e32 v63, v58, v54
	v_sub_f32_e32 v107, v56, v52
	v_add_f32_e32 v11, v49, v11
	v_mov_b32_e32 v113, v41
	v_mov_b32_e32 v116, v112
	v_sub_f32_e32 v15, v57, v59
	v_sub_f32_e32 v34, v59, v57
	;; [unrolled: 1-line block ×4, first 2 shown]
	v_add_f32_e32 v109, v47, v11
	s_mov_b32 s0, 0xbf737871
	v_mul_f32_e32 v11, 0x3e9e377a, v45
	v_fmac_f32_e32 v113, 0x3f737871, v63
	v_fmac_f32_e32 v41, 0xbf737871, v63
	;; [unrolled: 1-line block ×3, first 2 shown]
	v_fma_f32 v110, v44, s0, -v11
	v_sub_f32_e32 v44, v5, v88
	v_add_f32_e32 v111, v40, v15
	v_add_f32_e32 v5, v50, v34
	v_fmac_f32_e32 v113, 0xbf167918, v107
	v_fmac_f32_e32 v41, 0x3f167918, v107
	v_mul_f32_e32 v114, 0xbf167918, v46
	v_mul_f32_e32 v115, 0xbf737871, v0
	v_fmac_f32_e32 v116, 0xbf167918, v63
	v_fmac_f32_e32 v112, 0x3f737871, v107
	;; [unrolled: 1-line block ×7, first 2 shown]
	v_lshlrev_b32_e32 v5, 2, v67
	v_fmac_f32_e32 v112, 0x3f167918, v63
	s_mov_b32 s1, 0xbf167918
	v_mul_f32_e32 v63, 0x3f4f1bbd, v79
	v_sub_f32_e32 v45, v32, v9
	v_add_f32_e32 v65, v109, v108
	v_add_f32_e32 v66, v116, v114
	;; [unrolled: 1-line block ×4, first 2 shown]
	v_add_u32_e32 v40, v64, v5
	v_lshlrev_b32_e32 v86, 2, v69
	v_lshl_add_u32 v56, v71, 2, v64
	v_fmac_f32_e32 v112, 0x3e9e377a, v111
	v_fma_f32 v63, v78, s1, -v63
	ds_write_b64 v106, v[44:45] offset:32
	s_load_dwordx2 s[4:5], s[4:5], 0x0
	s_waitcnt lgkmcnt(0)
	; wave barrier
	s_waitcnt lgkmcnt(0)
	v_add3_u32 v0, 0, v5, v99
	v_lshl_add_u32 v58, v70, 2, v64
	v_add_u32_e32 v32, v64, v86
	v_lshl_add_u32 v59, v75, 2, v64
	v_lshl_add_u32 v27, v72, 2, v64
	;; [unrolled: 1-line block ×5, first 2 shown]
	ds_read_b32 v36, v40
	ds_read_b32 v81, v58
	;; [unrolled: 1-line block ×8, first 2 shown]
	v_lshl_add_u32 v57, v74, 2, v64
	ds_read_b32 v11, v56
	ds_read_b32 v9, v57
	ds_read2_b32 v[88:89], v0 offset0:90 offset1:95
	ds_read2_b32 v[117:118], v0 offset0:120 offset1:125
	;; [unrolled: 1-line block ×10, first 2 shown]
	s_waitcnt lgkmcnt(0)
	; wave barrier
	s_waitcnt lgkmcnt(0)
	ds_write2_b64 v100, v[65:66], v[84:85] offset1:1
	v_sub_f32_e32 v65, v116, v114
	v_sub_f32_e32 v66, v113, v115
	;; [unrolled: 1-line block ×3, first 2 shown]
	v_add_f32_e32 v78, v112, v63
	ds_write2_b64 v100, v[78:79], v[65:66] offset0:2 offset1:3
	v_sub_f32_e32 v65, v41, v110
	v_add_f32_e32 v41, v29, v10
	v_add_f32_e32 v41, v31, v41
	v_sub_f32_e32 v66, v112, v63
	v_add_f32_e32 v63, v43, v31
	v_sub_f32_e32 v30, v30, v42
	v_sub_f32_e32 v42, v29, v31
	;; [unrolled: 1-line block ×4, first 2 shown]
	v_add_f32_e32 v28, v39, v29
	v_add_f32_e32 v29, v43, v41
	v_sub_f32_e32 v41, v39, v43
	v_sub_f32_e32 v43, v43, v39
	v_add_f32_e32 v39, v39, v29
	v_add_f32_e32 v29, v37, v93
	v_mul_f32_e32 v26, 0x3e9e377a, v26
	v_add_f32_e32 v37, v41, v42
	v_fma_f32 v41, -0.5, v63, v10
	v_fmac_f32_e32 v10, -0.5, v28
	v_add_f32_e32 v29, v35, v29
	v_fma_f32 v35, v25, s0, -v26
	v_add_f32_e32 v25, v43, v31
	v_mov_b32_e32 v31, v10
	v_mov_b32_e32 v63, v41
	v_fmac_f32_e32 v31, 0x3f737871, v30
	v_fmac_f32_e32 v10, 0xbf737871, v30
	;; [unrolled: 1-line block ×5, first 2 shown]
	v_mul_f32_e32 v42, 0xbf167918, v97
	v_mul_f32_e32 v43, 0xbf737871, v91
	v_fmac_f32_e32 v63, 0xbf167918, v30
	v_add_f32_e32 v33, v33, v29
	v_fmac_f32_e32 v31, 0x3e9e377a, v25
	v_fmac_f32_e32 v10, 0x3e9e377a, v25
	;; [unrolled: 1-line block ×5, first 2 shown]
	v_add_f32_e32 v26, v10, v35
	v_add_f32_e32 v25, v31, v43
	;; [unrolled: 1-line block ×4, first 2 shown]
	v_fmac_f32_e32 v41, 0x3f737871, v38
	ds_write_b64 v100, v[65:66] offset:32
	ds_write2_b64 v102, v[28:29], v[25:26] offset1:1
	v_fmac_f32_e32 v41, 0x3f167918, v30
	v_mul_f32_e32 v28, 0x3f4f1bbd, v92
	v_fmac_f32_e32 v41, 0x3e9e377a, v37
	v_fma_f32 v30, v87, s1, -v28
	v_sub_f32_e32 v26, v31, v43
	v_sub_f32_e32 v25, v63, v42
	v_sub_f32_e32 v29, v39, v33
	v_add_f32_e32 v28, v41, v30
	ds_write2_b64 v102, v[28:29], v[25:26] offset0:2 offset1:3
	v_sub_f32_e32 v25, v10, v35
	v_add_f32_e32 v10, v22, v6
	v_add_f32_e32 v28, v20, v24
	;; [unrolled: 1-line block ×4, first 2 shown]
	v_sub_f32_e32 v19, v23, v19
	v_sub_f32_e32 v23, v22, v24
	;; [unrolled: 1-line block ×4, first 2 shown]
	v_add_f32_e32 v21, v18, v22
	v_sub_f32_e32 v22, v18, v20
	v_add_f32_e32 v12, v12, v14
	v_mul_f32_e32 v8, 0x3e9e377a, v8
	v_fma_f32 v14, -0.5, v28, v6
	v_add_f32_e32 v10, v20, v10
	v_fma_f32 v8, v7, s0, -v8
	v_add_f32_e32 v7, v22, v23
	v_mov_b32_e32 v22, v14
	v_fmac_f32_e32 v6, -0.5, v21
	v_sub_f32_e32 v20, v20, v18
	v_add_f32_e32 v10, v18, v10
	v_fmac_f32_e32 v22, 0xbf737871, v17
	v_fmac_f32_e32 v14, 0x3f737871, v17
	v_mov_b32_e32 v18, v6
	v_fmac_f32_e32 v22, 0xbf167918, v19
	v_fmac_f32_e32 v14, 0x3f167918, v19
	;; [unrolled: 1-line block ×6, first 2 shown]
	v_add_f32_e32 v7, v20, v24
	v_fmac_f32_e32 v18, 0xbf167918, v17
	v_fmac_f32_e32 v6, 0x3f167918, v17
	v_mul_f32_e32 v19, 0xbf737871, v95
	v_fmac_f32_e32 v18, 0x3e9e377a, v7
	v_fmac_f32_e32 v6, 0x3e9e377a, v7
	v_mul_f32_e32 v17, 0xbf167918, v104
	v_fmac_f32_e32 v19, 0x3e9e377a, v103
	v_mul_f32_e32 v7, 0x3f4f1bbd, v96
	v_sub_f32_e32 v26, v41, v30
	v_add_f32_e32 v12, v16, v12
	v_fmac_f32_e32 v17, 0x3f4f1bbd, v105
	v_fma_f32 v24, v82, s1, -v7
	v_add_f32_e32 v7, v6, v8
	v_sub_f32_e32 v16, v6, v8
	v_add_f32_e32 v6, v18, v19
	v_sub_f32_e32 v19, v18, v19
	v_sub_f32_e32 v18, v22, v17
	v_add_f32_e32 v21, v22, v17
	v_add_f32_e32 v20, v12, v10
	v_sub_f32_e32 v23, v10, v12
	v_add_f32_e32 v22, v14, v24
	v_sub_f32_e32 v17, v14, v24
	ds_write_b64 v102, v[25:26] offset:32
	ds_write2_b64 v106, v[20:21], v[6:7] offset1:1
	ds_write2_b64 v106, v[22:23], v[18:19] offset0:2 offset1:3
	ds_write_b64 v106, v[16:17] offset:32
	v_mov_b32_e32 v6, 0
	v_lshlrev_b64 v[7:8], 3, v[5:6]
	v_mov_b32_e32 v5, s13
	v_add_co_u32_e64 v24, s[0:1], s12, v7
	v_addc_co_u32_e64 v25, s[0:1], v5, v8, s[0:1]
	s_waitcnt lgkmcnt(0)
	; wave barrier
	s_waitcnt lgkmcnt(0)
	global_load_dwordx4 v[16:19], v[24:25], off offset:16
	v_mov_b32_e32 v87, v6
	v_lshlrev_b64 v[7:8], 3, v[86:87]
	v_add_co_u32_e64 v28, s[0:1], s12, v7
	v_addc_co_u32_e64 v29, s[0:1], v5, v8, s[0:1]
	global_load_dwordx4 v[20:23], v[28:29], off offset:16
	s_movk_i32 s0, 0xcd
	v_mul_lo_u16_sdwa v5, v71, s0 dst_sel:DWORD dst_unused:UNUSED_PAD src0_sel:BYTE_0 src1_sel:DWORD
	v_lshrrev_b16_e32 v5, 11, v5
	v_mul_lo_u16_e32 v5, 10, v5
	v_sub_u16_e32 v5, v71, v5
	v_and_b32_e32 v7, 0xff, v5
	v_mul_lo_u16_sdwa v8, v74, s0 dst_sel:DWORD dst_unused:UNUSED_PAD src0_sel:BYTE_0 src1_sel:DWORD
	v_lshlrev_b32_e32 v5, 5, v7
	global_load_dwordx4 v[94:97], v5, s[12:13]
	v_lshrrev_b16_e32 v8, 11, v8
	v_mul_lo_u16_e32 v8, 10, v8
	v_sub_u16_e32 v8, v74, v8
	v_and_b32_e32 v8, 0xff, v8
	v_lshlrev_b32_e32 v10, 5, v8
	global_load_dwordx4 v[98:101], v10, s[12:13]
	global_load_dwordx4 v[102:105], v5, s[12:13] offset:16
	global_load_dwordx4 v[106:109], v10, s[12:13] offset:16
	ds_read2_b32 v[37:38], v0 offset0:90 offset1:95
	ds_read2_b32 v[41:42], v0 offset0:120 offset1:125
	global_load_dwordx4 v[110:113], v[24:25], off
	ds_read2_b32 v[84:85], v0 offset0:130 offset1:135
	s_movk_i32 s0, 0x96
	s_waitcnt vmcnt(6) lgkmcnt(2)
	v_mul_f32_e32 v5, v37, v17
	v_fma_f32 v10, v88, v16, -v5
	s_waitcnt lgkmcnt(1)
	v_mul_f32_e32 v5, v41, v19
	v_mul_f32_e32 v87, v88, v17
	v_fma_f32 v12, v117, v18, -v5
	v_mul_f32_e32 v88, v117, v19
	global_load_dwordx4 v[114:117], v[28:29], off
	ds_read2_b32 v[24:25], v0 offset0:100 offset1:105
	v_mul_f32_e32 v31, v119, v17
	v_fmac_f32_e32 v87, v37, v16
	v_fmac_f32_e32 v88, v41, v18
	s_waitcnt vmcnt(6)
	v_mul_f32_e32 v41, v120, v21
	s_waitcnt lgkmcnt(0)
	v_mul_f32_e32 v5, v24, v17
	v_fma_f32 v65, v119, v16, -v5
	v_mul_f32_e32 v5, v84, v19
	v_fma_f32 v66, v121, v18, -v5
	;; [unrolled: 2-line block ×3, first 2 shown]
	v_mul_f32_e32 v5, v42, v23
	v_fmac_f32_e32 v31, v24, v16
	v_mul_f32_e32 v89, v89, v21
	v_fma_f32 v93, v118, v22, -v5
	v_mul_f32_e32 v5, v25, v21
	ds_read2_b32 v[16:17], v0 offset0:50 offset1:55
	v_mul_f32_e32 v37, v121, v19
	v_fmac_f32_e32 v89, v38, v20
	v_fma_f32 v78, v120, v20, -v5
	v_fmac_f32_e32 v41, v25, v20
	ds_read2_b32 v[19:20], v0 offset0:80 offset1:85
	v_mul_f32_e32 v5, v85, v23
	v_mul_f32_e32 v91, v118, v23
	v_fma_f32 v79, v122, v22, -v5
	s_waitcnt vmcnt(5) lgkmcnt(1)
	v_mul_f32_e32 v5, v16, v95
	v_fmac_f32_e32 v91, v42, v22
	v_fma_f32 v42, v52, v94, -v5
	s_waitcnt lgkmcnt(0)
	v_mul_f32_e32 v5, v19, v97
	v_mul_f32_e32 v29, v52, v95
	v_fma_f32 v52, v54, v96, -v5
	s_waitcnt vmcnt(4)
	v_mul_f32_e32 v5, v17, v99
	v_fma_f32 v21, v53, v98, -v5
	v_mul_f32_e32 v5, v53, v99
	v_mul_f32_e32 v63, v122, v23
	v_fmac_f32_e32 v29, v16, v94
	v_fmac_f32_e32 v5, v17, v98
	ds_read2_b32 v[16:17], v0 offset0:110 offset1:115
	v_fmac_f32_e32 v63, v85, v22
	ds_read2_b32 v[22:23], v0 offset0:140 offset1:145
	v_mul_f32_e32 v14, v20, v101
	v_fma_f32 v28, v55, v100, -v14
	s_waitcnt vmcnt(3) lgkmcnt(1)
	v_mul_f32_e32 v14, v16, v103
	v_fma_f32 v53, v50, v102, -v14
	s_waitcnt lgkmcnt(0)
	v_mul_f32_e32 v14, v22, v105
	v_mul_f32_e32 v30, v54, v97
	;; [unrolled: 1-line block ×3, first 2 shown]
	v_fma_f32 v50, v48, v104, -v14
	v_mul_f32_e32 v48, v48, v105
	s_waitcnt vmcnt(2)
	v_mul_f32_e32 v14, v17, v107
	v_fmac_f32_e32 v30, v19, v96
	v_mul_f32_e32 v19, v55, v101
	v_fmac_f32_e32 v48, v22, v104
	v_fma_f32 v38, v51, v106, -v14
	v_mul_f32_e32 v14, v23, v109
	v_mul_f32_e32 v22, v49, v109
	v_fmac_f32_e32 v37, v84, v18
	v_fmac_f32_e32 v19, v20, v100
	;; [unrolled: 1-line block ×3, first 2 shown]
	v_mul_f32_e32 v20, v51, v107
	v_fma_f32 v43, v49, v108, -v14
	v_fmac_f32_e32 v22, v23, v108
	ds_read_b32 v16, v58
	ds_read_b32 v25, v62
	;; [unrolled: 1-line block ×8, first 2 shown]
	s_waitcnt vmcnt(1)
	v_mul_f32_e32 v99, v81, v111
	s_waitcnt lgkmcnt(7)
	v_mul_f32_e32 v14, v16, v111
	v_fmac_f32_e32 v99, v16, v110
	s_waitcnt lgkmcnt(4)
	v_mul_f32_e32 v16, v23, v111
	v_fma_f32 v85, v80, v110, -v16
	v_mul_f32_e32 v80, v80, v111
	v_fmac_f32_e32 v20, v17, v106
	ds_read2_b32 v[17:18], v0 offset0:60 offset1:65
	v_fmac_f32_e32 v80, v23, v110
	ds_read2_b32 v[23:24], v0 offset0:70 offset1:75
	v_mul_f32_e32 v102, v46, v113
	v_fma_f32 v14, v81, v110, -v14
	s_waitcnt lgkmcnt(1)
	v_mul_f32_e32 v16, v17, v113
	v_fmac_f32_e32 v102, v17, v112
	s_waitcnt lgkmcnt(0)
	v_mul_f32_e32 v17, v23, v113
	v_fma_f32 v86, v44, v112, -v17
	s_waitcnt vmcnt(0)
	v_mul_f32_e32 v17, v18, v117
	v_fma_f32 v100, v47, v116, -v17
	v_mul_f32_e32 v17, v24, v117
	v_fma_f32 v16, v46, v112, -v16
	;; [unrolled: 2-line block ×3, first 2 shown]
	v_mul_f32_e32 v17, v26, v115
	v_fmac_f32_e32 v82, v23, v112
	v_mul_f32_e32 v96, v47, v117
	v_fma_f32 v103, v83, v114, -v17
	v_mul_f32_e32 v17, v25, v115
	v_add_f32_e32 v23, v16, v10
	v_fmac_f32_e32 v96, v18, v116
	v_mul_f32_e32 v46, v45, v117
	v_mul_f32_e32 v98, v83, v115
	v_fma_f32 v83, v90, v114, -v17
	v_mul_f32_e32 v47, v90, v115
	v_sub_f32_e32 v17, v14, v16
	v_sub_f32_e32 v18, v12, v10
	v_fma_f32 v23, -0.5, v23, v36
	v_fmac_f32_e32 v46, v24, v116
	v_fmac_f32_e32 v47, v25, v114
	v_add_f32_e32 v17, v17, v18
	v_add_f32_e32 v18, v36, v14
	v_sub_f32_e32 v24, v99, v88
	v_mov_b32_e32 v25, v23
	v_fmac_f32_e32 v98, v26, v114
	v_add_f32_e32 v18, v18, v16
	v_fmac_f32_e32 v25, 0x3f737871, v24
	v_sub_f32_e32 v26, v102, v87
	v_add_f32_e32 v18, v18, v10
	v_fmac_f32_e32 v25, 0x3f167918, v26
	v_add_f32_e32 v18, v18, v12
	v_fmac_f32_e32 v25, 0x3e9e377a, v17
	ds_read_b32 v45, v56
	ds_read_b32 v44, v57
	s_waitcnt lgkmcnt(0)
	; wave barrier
	s_waitcnt lgkmcnt(0)
	ds_write2_b32 v0, v18, v25 offset1:10
	v_add_f32_e32 v18, v14, v12
	v_fmac_f32_e32 v36, -0.5, v18
	v_sub_f32_e32 v18, v16, v14
	v_sub_f32_e32 v25, v10, v12
	v_fmac_f32_e32 v23, 0xbf737871, v24
	v_add_f32_e32 v18, v18, v25
	v_mov_b32_e32 v25, v36
	v_fmac_f32_e32 v23, 0xbf167918, v26
	v_fmac_f32_e32 v25, 0xbf737871, v26
	;; [unrolled: 1-line block ×6, first 2 shown]
	ds_write_b32 v0, v23 offset:160
	v_add_f32_e32 v23, v100, v92
	v_fmac_f32_e32 v25, 0x3e9e377a, v18
	v_fmac_f32_e32 v36, 0x3e9e377a, v18
	v_sub_f32_e32 v17, v103, v100
	v_sub_f32_e32 v18, v93, v92
	v_fma_f32 v23, -0.5, v23, v34
	ds_write2_b32 v0, v25, v36 offset0:20 offset1:30
	v_add_f32_e32 v17, v17, v18
	v_add_f32_e32 v18, v34, v103
	v_sub_f32_e32 v24, v98, v91
	v_mov_b32_e32 v25, v23
	v_add_f32_e32 v18, v18, v100
	v_fmac_f32_e32 v25, 0x3f737871, v24
	v_sub_f32_e32 v26, v96, v89
	v_add_f32_e32 v18, v18, v92
	v_fmac_f32_e32 v25, 0x3f167918, v26
	v_add_f32_e32 v18, v18, v93
	v_fmac_f32_e32 v25, 0x3e9e377a, v17
	ds_write2_b32 v32, v18, v25 offset1:10
	v_add_f32_e32 v18, v103, v93
	v_fmac_f32_e32 v34, -0.5, v18
	v_sub_f32_e32 v18, v100, v103
	v_sub_f32_e32 v25, v92, v93
	v_fmac_f32_e32 v23, 0xbf737871, v24
	v_add_f32_e32 v18, v18, v25
	v_mov_b32_e32 v25, v34
	v_fmac_f32_e32 v23, 0xbf167918, v26
	v_fmac_f32_e32 v25, 0xbf737871, v26
	v_fmac_f32_e32 v34, 0x3f737871, v26
	v_fmac_f32_e32 v23, 0x3e9e377a, v17
	v_fmac_f32_e32 v25, 0x3f167918, v24
	v_fmac_f32_e32 v34, 0xbf167918, v24
	ds_write_b32 v32, v23 offset:160
	v_add_f32_e32 v23, v86, v65
	v_fmac_f32_e32 v25, 0x3e9e377a, v18
	v_fmac_f32_e32 v34, 0x3e9e377a, v18
	v_sub_f32_e32 v17, v85, v86
	v_sub_f32_e32 v18, v66, v65
	v_fma_f32 v23, -0.5, v23, v15
	ds_write2_b32 v32, v25, v34 offset0:20 offset1:30
	v_add_f32_e32 v17, v17, v18
	v_add_f32_e32 v18, v15, v85
	v_sub_f32_e32 v24, v80, v37
	v_mov_b32_e32 v25, v23
	v_add_f32_e32 v18, v18, v86
	v_fmac_f32_e32 v25, 0x3f737871, v24
	v_sub_f32_e32 v26, v82, v31
	v_fmac_f32_e32 v23, 0xbf737871, v24
	v_add_f32_e32 v18, v18, v65
	v_fmac_f32_e32 v25, 0x3f167918, v26
	v_fmac_f32_e32 v23, 0xbf167918, v26
	v_add_f32_e32 v18, v18, v66
	v_fmac_f32_e32 v25, 0x3e9e377a, v17
	v_fmac_f32_e32 v23, 0x3e9e377a, v17
	v_add_f32_e32 v17, v85, v66
	ds_write2_b32 v0, v18, v25 offset0:50 offset1:60
	v_fmac_f32_e32 v15, -0.5, v17
	v_sub_f32_e32 v17, v86, v85
	v_sub_f32_e32 v18, v65, v66
	v_add_f32_e32 v17, v17, v18
	v_mov_b32_e32 v18, v15
	v_fmac_f32_e32 v18, 0xbf737871, v26
	v_fmac_f32_e32 v18, 0x3f167918, v24
	;; [unrolled: 1-line block ×5, first 2 shown]
	ds_write_b32 v0, v18 offset:280
	v_add_f32_e32 v18, v81, v78
	v_fmac_f32_e32 v15, 0x3e9e377a, v17
	v_sub_f32_e32 v17, v83, v81
	v_sub_f32_e32 v24, v79, v78
	v_lshl_add_u32 v106, v77, 2, v64
	v_fma_f32 v18, -0.5, v18, v13
	v_add_f32_e32 v17, v17, v24
	ds_write_b32 v106, v15
	ds_write_b32 v0, v23 offset:360
	v_add_f32_e32 v15, v13, v83
	v_sub_f32_e32 v23, v47, v63
	v_mov_b32_e32 v24, v18
	v_add_f32_e32 v15, v15, v81
	v_fmac_f32_e32 v24, 0x3f737871, v23
	v_sub_f32_e32 v25, v46, v41
	v_add_f32_e32 v15, v15, v78
	v_fmac_f32_e32 v24, 0x3f167918, v25
	v_add_f32_e32 v15, v15, v79
	v_fmac_f32_e32 v24, 0x3e9e377a, v17
	ds_write2_b32 v32, v15, v24 offset0:50 offset1:60
	v_add_f32_e32 v15, v83, v79
	v_fmac_f32_e32 v13, -0.5, v15
	v_sub_f32_e32 v15, v81, v83
	v_sub_f32_e32 v24, v78, v79
	v_add_f32_e32 v15, v15, v24
	v_mov_b32_e32 v24, v13
	v_fmac_f32_e32 v24, 0xbf737871, v25
	v_fmac_f32_e32 v13, 0x3f737871, v25
	v_fmac_f32_e32 v18, 0xbf737871, v23
	v_fmac_f32_e32 v24, 0x3f167918, v23
	v_fmac_f32_e32 v13, 0xbf167918, v23
	v_fmac_f32_e32 v18, 0xbf167918, v25
	v_fmac_f32_e32 v24, 0x3e9e377a, v15
	v_fmac_f32_e32 v13, 0x3e9e377a, v15
	v_fmac_f32_e32 v18, 0x3e9e377a, v17
	v_add_f32_e32 v17, v52, v53
	ds_write2_b32 v32, v24, v13 offset0:70 offset1:80
	v_sub_f32_e32 v13, v42, v52
	v_sub_f32_e32 v15, v50, v53
	v_fma_f32 v17, -0.5, v17, v11
	v_add_f32_e32 v13, v13, v15
	ds_write_b32 v32, v18 offset:360
	v_add_f32_e32 v15, v11, v42
	v_sub_f32_e32 v18, v29, v48
	v_mov_b32_e32 v23, v17
	v_add_f32_e32 v15, v15, v52
	v_fmac_f32_e32 v23, 0x3f737871, v18
	v_sub_f32_e32 v24, v30, v39
	v_add_f32_e32 v15, v15, v53
	v_fmac_f32_e32 v23, 0x3f167918, v24
	v_add_f32_e32 v15, v15, v50
	v_fmac_f32_e32 v23, 0x3e9e377a, v13
	v_lshl_add_u32 v107, v7, 2, v64
	v_add_f32_e32 v7, v42, v50
	ds_write2_b32 v107, v15, v23 offset0:100 offset1:110
	v_fmac_f32_e32 v11, -0.5, v7
	v_sub_f32_e32 v7, v52, v42
	v_sub_f32_e32 v15, v53, v50
	v_add_f32_e32 v7, v7, v15
	v_mov_b32_e32 v15, v11
	v_fmac_f32_e32 v15, 0xbf737871, v24
	v_fmac_f32_e32 v11, 0x3f737871, v24
	;; [unrolled: 1-line block ×6, first 2 shown]
	ds_write2_b32 v107, v15, v11 offset0:120 offset1:130
	v_sub_f32_e32 v7, v21, v28
	v_sub_f32_e32 v11, v43, v38
	v_add_f32_e32 v7, v7, v11
	v_add_f32_e32 v11, v28, v38
	v_fma_f32 v11, -0.5, v11, v9
	v_lshl_add_u32 v108, v8, 2, v64
	v_add_f32_e32 v8, v9, v21
	v_sub_f32_e32 v15, v5, v22
	v_mov_b32_e32 v23, v11
	v_add_f32_e32 v8, v8, v28
	v_fmac_f32_e32 v23, 0x3f737871, v15
	v_sub_f32_e32 v25, v19, v20
	v_add_f32_e32 v8, v8, v38
	v_fmac_f32_e32 v23, 0x3f167918, v25
	v_fmac_f32_e32 v11, 0xbf737871, v15
	v_add_f32_e32 v8, v8, v43
	v_fmac_f32_e32 v23, 0x3e9e377a, v7
	v_fmac_f32_e32 v11, 0xbf167918, v25
	ds_write2_b32 v108, v8, v23 offset0:100 offset1:110
	v_add_f32_e32 v8, v21, v43
	v_fmac_f32_e32 v11, 0x3e9e377a, v7
	v_add_f32_e32 v7, v97, v99
	v_fmac_f32_e32 v9, -0.5, v8
	v_sub_f32_e32 v8, v28, v21
	v_sub_f32_e32 v23, v38, v43
	v_add_f32_e32 v7, v7, v102
	v_add_f32_e32 v8, v8, v23
	v_mov_b32_e32 v23, v9
	v_add_f32_e32 v7, v7, v87
	v_fmac_f32_e32 v23, 0xbf737871, v25
	v_fmac_f32_e32 v9, 0x3f737871, v25
	v_add_f32_e32 v112, v7, v88
	v_add_f32_e32 v7, v102, v87
	v_fmac_f32_e32 v23, 0x3f167918, v15
	v_fmac_f32_e32 v9, 0xbf167918, v15
	v_fma_f32 v113, -0.5, v7, v97
	v_fmac_f32_e32 v23, 0x3e9e377a, v8
	v_fmac_f32_e32 v9, 0x3e9e377a, v8
	v_sub_f32_e32 v109, v14, v12
	v_mov_b32_e32 v114, v113
	ds_write2_b32 v108, v23, v9 offset0:120 offset1:130
	v_sub_f32_e32 v110, v16, v10
	v_sub_f32_e32 v8, v99, v102
	;; [unrolled: 1-line block ×3, first 2 shown]
	v_fmac_f32_e32 v17, 0xbf737871, v18
	v_fmac_f32_e32 v114, 0xbf737871, v109
	v_add_f32_e32 v111, v8, v9
	v_fmac_f32_e32 v17, 0xbf167918, v24
	v_fmac_f32_e32 v114, 0xbf167918, v110
	;; [unrolled: 1-line block ×4, first 2 shown]
	ds_write_b32 v107, v17 offset:560
	ds_write_b32 v108, v11 offset:560
	s_waitcnt lgkmcnt(0)
	; wave barrier
	s_waitcnt lgkmcnt(0)
	ds_read_b32 v54, v40
	ds_read_b32 v90, v56
	;; [unrolled: 1-line block ×10, first 2 shown]
	ds_read2_b32 v[9:10], v0 offset0:50 offset1:55
	ds_read2_b32 v[15:16], v0 offset0:60 offset1:65
	;; [unrolled: 1-line block ×10, first 2 shown]
	s_waitcnt lgkmcnt(0)
	; wave barrier
	s_waitcnt lgkmcnt(0)
	ds_write2_b32 v0, v112, v114 offset1:10
	v_add_f32_e32 v112, v99, v88
	v_fmac_f32_e32 v97, -0.5, v112
	v_sub_f32_e32 v87, v87, v88
	v_mov_b32_e32 v88, v97
	v_sub_f32_e32 v99, v102, v99
	v_fmac_f32_e32 v88, 0x3f737871, v110
	v_fmac_f32_e32 v97, 0xbf737871, v110
	v_add_f32_e32 v87, v99, v87
	v_fmac_f32_e32 v88, 0xbf167918, v109
	v_fmac_f32_e32 v97, 0x3f167918, v109
	;; [unrolled: 1-line block ×4, first 2 shown]
	ds_write2_b32 v0, v88, v97 offset0:20 offset1:30
	v_add_f32_e32 v97, v96, v89
	v_sub_f32_e32 v87, v103, v93
	v_sub_f32_e32 v88, v100, v92
	;; [unrolled: 1-line block ×4, first 2 shown]
	v_fma_f32 v97, -0.5, v97, v84
	v_add_f32_e32 v92, v92, v93
	v_add_f32_e32 v93, v84, v98
	v_mov_b32_e32 v99, v97
	v_fmac_f32_e32 v113, 0x3f737871, v109
	v_add_f32_e32 v93, v93, v96
	v_fmac_f32_e32 v99, 0xbf737871, v87
	v_fmac_f32_e32 v113, 0x3f167918, v110
	v_add_f32_e32 v93, v93, v89
	v_fmac_f32_e32 v99, 0xbf167918, v88
	;; [unrolled: 3-line block ×3, first 2 shown]
	ds_write_b32 v0, v113 offset:160
	ds_write2_b32 v32, v93, v99 offset1:10
	v_add_f32_e32 v93, v98, v91
	v_fmac_f32_e32 v84, -0.5, v93
	v_sub_f32_e32 v89, v89, v91
	v_mov_b32_e32 v91, v84
	v_sub_f32_e32 v93, v96, v98
	v_fmac_f32_e32 v91, 0x3f737871, v88
	v_fmac_f32_e32 v84, 0xbf737871, v88
	v_add_f32_e32 v89, v93, v89
	v_fmac_f32_e32 v91, 0xbf167918, v87
	v_fmac_f32_e32 v84, 0x3f167918, v87
	;; [unrolled: 1-line block ×4, first 2 shown]
	ds_write2_b32 v32, v91, v84 offset0:20 offset1:30
	v_sub_f32_e32 v66, v85, v66
	v_sub_f32_e32 v84, v80, v82
	;; [unrolled: 1-line block ×3, first 2 shown]
	v_add_f32_e32 v84, v84, v85
	v_add_f32_e32 v85, v82, v31
	v_fma_f32 v85, -0.5, v85, v51
	v_sub_f32_e32 v65, v86, v65
	v_mov_b32_e32 v86, v85
	v_fmac_f32_e32 v86, 0xbf737871, v66
	v_fmac_f32_e32 v85, 0x3f737871, v66
	;; [unrolled: 1-line block ×4, first 2 shown]
	v_add_f32_e32 v87, v51, v80
	v_fmac_f32_e32 v85, 0x3f167918, v65
	v_fmac_f32_e32 v86, 0x3e9e377a, v84
	v_add_f32_e32 v87, v87, v82
	v_fmac_f32_e32 v85, 0x3e9e377a, v84
	v_add_f32_e32 v84, v80, v37
	v_add_f32_e32 v87, v87, v31
	v_fmac_f32_e32 v51, -0.5, v84
	v_add_f32_e32 v87, v87, v37
	v_sub_f32_e32 v31, v31, v37
	v_mov_b32_e32 v37, v51
	v_fmac_f32_e32 v37, 0x3f737871, v65
	v_fmac_f32_e32 v51, 0xbf737871, v65
	;; [unrolled: 1-line block ×4, first 2 shown]
	v_sub_f32_e32 v65, v81, v78
	v_sub_f32_e32 v66, v47, v46
	;; [unrolled: 1-line block ×4, first 2 shown]
	v_add_f32_e32 v66, v66, v78
	v_add_f32_e32 v78, v46, v41
	;; [unrolled: 1-line block ×3, first 2 shown]
	v_fma_f32 v78, -0.5, v78, v49
	v_fmac_f32_e32 v37, 0x3e9e377a, v31
	v_fmac_f32_e32 v51, 0x3e9e377a, v31
	v_sub_f32_e32 v31, v83, v79
	v_mov_b32_e32 v79, v78
	v_fmac_f32_e32 v79, 0xbf737871, v31
	v_fmac_f32_e32 v78, 0x3f737871, v31
	;; [unrolled: 1-line block ×6, first 2 shown]
	v_add_f32_e32 v66, v49, v47
	v_add_f32_e32 v80, v47, v63
	;; [unrolled: 1-line block ×3, first 2 shown]
	v_fmac_f32_e32 v49, -0.5, v80
	v_sub_f32_e32 v46, v46, v47
	v_add_f32_e32 v47, v66, v41
	v_sub_f32_e32 v41, v41, v63
	v_add_f32_e32 v41, v46, v41
	v_mov_b32_e32 v46, v49
	v_fmac_f32_e32 v46, 0x3f737871, v65
	v_fmac_f32_e32 v49, 0xbf737871, v65
	;; [unrolled: 1-line block ×4, first 2 shown]
	v_sub_f32_e32 v31, v42, v50
	v_sub_f32_e32 v42, v29, v30
	;; [unrolled: 1-line block ×3, first 2 shown]
	v_add_f32_e32 v42, v42, v50
	v_add_f32_e32 v50, v30, v39
	v_fma_f32 v50, -0.5, v50, v45
	v_fmac_f32_e32 v46, 0x3e9e377a, v41
	v_fmac_f32_e32 v49, 0x3e9e377a, v41
	v_sub_f32_e32 v41, v52, v53
	v_mov_b32_e32 v52, v50
	v_fmac_f32_e32 v52, 0xbf737871, v31
	v_fmac_f32_e32 v50, 0x3f737871, v31
	;; [unrolled: 1-line block ×6, first 2 shown]
	v_add_f32_e32 v42, v45, v29
	v_add_f32_e32 v53, v29, v48
	;; [unrolled: 1-line block ×3, first 2 shown]
	v_fmac_f32_e32 v45, -0.5, v53
	v_sub_f32_e32 v29, v30, v29
	v_add_f32_e32 v30, v42, v39
	v_sub_f32_e32 v39, v39, v48
	v_add_f32_e32 v29, v29, v39
	v_mov_b32_e32 v39, v45
	v_fmac_f32_e32 v39, 0x3f737871, v41
	v_fmac_f32_e32 v45, 0xbf737871, v41
	;; [unrolled: 1-line block ×6, first 2 shown]
	v_sub_f32_e32 v29, v5, v19
	v_sub_f32_e32 v31, v22, v20
	v_add_f32_e32 v29, v29, v31
	v_add_f32_e32 v31, v19, v20
	v_fma_f32 v31, -0.5, v31, v44
	v_sub_f32_e32 v21, v21, v43
	v_sub_f32_e32 v28, v28, v38
	v_mov_b32_e32 v38, v31
	v_fmac_f32_e32 v38, 0xbf737871, v21
	v_fmac_f32_e32 v31, 0x3f737871, v21
	;; [unrolled: 1-line block ×6, first 2 shown]
	v_add_f32_e32 v29, v44, v5
	v_add_f32_e32 v41, v5, v22
	;; [unrolled: 1-line block ×3, first 2 shown]
	v_fmac_f32_e32 v44, -0.5, v41
	v_sub_f32_e32 v5, v19, v5
	v_add_f32_e32 v19, v29, v20
	v_sub_f32_e32 v20, v20, v22
	v_add_f32_e32 v5, v5, v20
	v_mov_b32_e32 v20, v44
	v_fmac_f32_e32 v97, 0x3f167918, v88
	v_fmac_f32_e32 v20, 0x3f737871, v28
	;; [unrolled: 1-line block ×6, first 2 shown]
	ds_write_b32 v32, v97 offset:160
	ds_write2_b32 v0, v87, v86 offset0:50 offset1:60
	v_add_f32_e32 v47, v47, v63
	v_add_f32_e32 v30, v30, v48
	;; [unrolled: 1-line block ×3, first 2 shown]
	v_fmac_f32_e32 v20, 0x3e9e377a, v5
	v_fmac_f32_e32 v44, 0x3e9e377a, v5
	ds_write_b32 v0, v37 offset:280
	ds_write_b32 v106, v51
	ds_write_b32 v0, v85 offset:360
	ds_write2_b32 v32, v47, v79 offset0:50 offset1:60
	ds_write2_b32 v32, v46, v49 offset0:70 offset1:80
	ds_write_b32 v32, v78 offset:360
	ds_write2_b32 v107, v30, v52 offset0:100 offset1:110
	ds_write2_b32 v107, v39, v45 offset0:120 offset1:130
	;; [unrolled: 3-line block ×3, first 2 shown]
	ds_write_b32 v108, v31 offset:560
	s_waitcnt lgkmcnt(0)
	; wave barrier
	s_waitcnt lgkmcnt(0)
	s_and_saveexec_b64 s[6:7], vcc
	s_cbranch_execz .LBB0_14
; %bb.13:
	v_lshlrev_b32_e32 v5, 1, v73
	v_lshlrev_b64 v[19:20], 3, v[5:6]
	v_lshlrev_b32_e32 v5, 1, v76
	v_mov_b32_e32 v48, s13
	v_add_co_u32_e32 v19, vcc, s12, v19
	v_lshlrev_b64 v[28:29], 3, v[5:6]
	v_addc_co_u32_e32 v20, vcc, v48, v20, vcc
	v_add_co_u32_e32 v28, vcc, s12, v28
	global_load_dwordx4 v[19:22], v[19:20], off offset:320
	v_addc_co_u32_e32 v29, vcc, v48, v29, vcc
	global_load_dwordx4 v[28:31], v[28:29], off offset:320
	v_lshlrev_b32_e32 v5, 1, v75
	v_lshlrev_b64 v[37:38], 3, v[5:6]
	v_lshlrev_b32_e32 v5, 1, v70
	v_add_co_u32_e32 v37, vcc, s12, v37
	v_addc_co_u32_e32 v38, vcc, v48, v38, vcc
	global_load_dwordx4 v[44:47], v[37:38], off offset:320
	v_lshlrev_b64 v[49:50], 3, v[5:6]
	v_mul_lo_u32 v39, s5, v3
	v_add_co_u32_e32 v49, vcc, s12, v49
	v_addc_co_u32_e32 v50, vcc, v48, v50, vcc
	v_mul_lo_u32 v41, s4, v4
	v_mad_u64_u32 v[42:43], s[4:5], s4, v3, 0
	ds_read2_b32 v[3:4], v0 offset0:90 offset1:95
	ds_read2_b32 v[37:38], v0 offset0:140 offset1:145
	ds_read_b32 v53, v62
	ds_read_b32 v80, v61
	;; [unrolled: 1-line block ×4, first 2 shown]
	global_load_dwordx4 v[49:52], v[49:50], off offset:320
	v_lshlrev_b32_e32 v5, 1, v74
	v_lshlrev_b64 v[60:61], 3, v[5:6]
	v_add3_u32 v43, v43, v41, v39
	v_add_co_u32_e32 v60, vcc, s12, v60
	v_addc_co_u32_e32 v61, vcc, v48, v61, vcc
	global_load_dwordx4 v[60:63], v[60:61], off offset:320
	ds_read_b32 v82, v32
	ds_read_b32 v83, v40
	s_mov_b32 s1, 0x51eb851f
	v_lshlrev_b64 v[42:43], 3, v[42:43]
	s_waitcnt vmcnt(4) lgkmcnt(7)
	v_mul_f32_e32 v5, v4, v20
	s_waitcnt lgkmcnt(6)
	v_mul_f32_e32 v27, v38, v22
	v_mul_f32_e32 v20, v12, v20
	;; [unrolled: 1-line block ×3, first 2 shown]
	v_fma_f32 v5, v12, v19, -v5
	v_fma_f32 v27, v14, v21, -v27
	v_fmac_f32_e32 v20, v19, v4
	v_fmac_f32_e32 v22, v21, v38
	s_waitcnt vmcnt(3)
	v_mul_f32_e32 v19, v11, v29
	v_mul_f32_e32 v21, v13, v31
	;; [unrolled: 1-line block ×4, first 2 shown]
	v_add_f32_e32 v14, v20, v22
	s_waitcnt lgkmcnt(5)
	v_add_f32_e32 v31, v20, v53
	v_add_f32_e32 v38, v5, v27
	v_fmac_f32_e32 v19, v28, v3
	v_fmac_f32_e32 v21, v30, v37
	v_sub_f32_e32 v29, v5, v27
	v_sub_f32_e32 v20, v20, v22
	v_add_f32_e32 v5, v105, v5
	v_fma_f32 v41, v11, v28, -v4
	v_fma_f32 v70, v13, v30, -v12
	v_fma_f32 v12, -0.5, v14, v53
	v_add_f32_e32 v14, v22, v31
	v_fma_f32 v11, -0.5, v38, v105
	v_add_f32_e32 v22, v19, v21
	ds_read2_b32 v[38:39], v0 offset0:80 offset1:85
	v_add_f32_e32 v13, v5, v27
	s_waitcnt lgkmcnt(4)
	v_add_f32_e32 v27, v19, v65
	v_fma_f32 v22, -0.5, v22, v65
	ds_read2_b32 v[65:66], v0 offset0:130 offset1:135
	v_add_f32_e32 v30, v41, v70
	v_mov_b32_e32 v3, v11
	v_sub_f32_e32 v5, v41, v70
	v_sub_f32_e32 v31, v19, v21
	v_fmac_f32_e32 v11, 0x3f5db3d7, v20
	v_add_f32_e32 v28, v21, v27
	v_fma_f32 v21, -0.5, v30, v104
	v_fmac_f32_e32 v3, 0xbf5db3d7, v20
	v_mov_b32_e32 v20, v22
	v_fmac_f32_e32 v22, 0xbf5db3d7, v5
	v_mov_b32_e32 v19, v21
	v_fmac_f32_e32 v20, 0x3f5db3d7, v5
	v_add_f32_e32 v5, v104, v41
	v_fmac_f32_e32 v19, 0xbf5db3d7, v31
	v_fmac_f32_e32 v21, 0x3f5db3d7, v31
	v_add_f32_e32 v27, v5, v70
	s_waitcnt vmcnt(2) lgkmcnt(1)
	v_mul_f32_e32 v5, v39, v45
	ds_read_b32 v31, v59
	v_fma_f32 v41, v36, v44, -v5
	s_waitcnt lgkmcnt(1)
	v_mul_f32_e32 v5, v66, v47
	v_fma_f32 v53, v34, v46, -v5
	v_mul_f32_e32 v45, v36, v45
	v_mul_f32_e32 v34, v34, v47
	v_fmac_f32_e32 v45, v44, v39
	v_fmac_f32_e32 v34, v46, v66
	v_add_f32_e32 v5, v45, v34
	s_waitcnt lgkmcnt(0)
	v_fma_f32 v32, -0.5, v5, v31
	v_lshlrev_b32_e32 v5, 1, v71
	v_lshlrev_b64 v[36:37], 3, v[5:6]
	v_add_f32_e32 v5, v45, v31
	v_add_co_u32_e32 v36, vcc, s12, v36
	v_addc_co_u32_e32 v37, vcc, v48, v37, vcc
	global_load_dwordx4 v[73:76], v[36:37], off offset:320
	v_mov_b32_e32 v4, v12
	v_add_f32_e32 v37, v34, v5
	v_add_f32_e32 v5, v41, v53
	v_fmac_f32_e32 v12, 0xbf5db3d7, v29
	v_fmac_f32_e32 v4, 0x3f5db3d7, v29
	v_sub_f32_e32 v29, v41, v53
	v_mov_b32_e32 v30, v32
	v_fma_f32 v31, -0.5, v5, v101
	v_fmac_f32_e32 v30, 0x3f5db3d7, v29
	v_fmac_f32_e32 v32, 0xbf5db3d7, v29
	v_sub_f32_e32 v5, v45, v34
	v_mov_b32_e32 v29, v31
	v_fmac_f32_e32 v29, 0xbf5db3d7, v5
	v_fmac_f32_e32 v31, 0x3f5db3d7, v5
	v_add_f32_e32 v5, v101, v41
	v_add_f32_e32 v36, v5, v53
	s_waitcnt vmcnt(2)
	v_mul_f32_e32 v5, v38, v50
	v_fma_f32 v46, v35, v49, -v5
	v_mul_f32_e32 v35, v35, v50
	v_fmac_f32_e32 v35, v49, v38
	ds_read_b32 v38, v58
	v_mul_f32_e32 v5, v65, v52
	v_fma_f32 v47, v33, v51, -v5
	v_mul_f32_e32 v33, v33, v52
	v_fmac_f32_e32 v33, v51, v65
	v_add_f32_e32 v34, v35, v33
	s_waitcnt lgkmcnt(0)
	v_fma_f32 v39, -0.5, v34, v38
	v_sub_f32_e32 v5, v46, v47
	v_mov_b32_e32 v34, v39
	v_fmac_f32_e32 v34, 0x3f5db3d7, v5
	v_fmac_f32_e32 v39, 0xbf5db3d7, v5
	v_add_f32_e32 v5, v35, v38
	v_add_f32_e32 v41, v33, v5
	;; [unrolled: 1-line block ×3, first 2 shown]
	v_fma_f32 v38, -0.5, v5, v95
	v_lshlrev_b32_e32 v5, 1, v68
	v_lshlrev_b64 v[44:45], 3, v[5:6]
	ds_read2_b32 v[65:66], v0 offset0:70 offset1:75
	ds_read2_b32 v[70:71], v0 offset0:120 offset1:125
	v_add_co_u32_e32 v44, vcc, s12, v44
	v_addc_co_u32_e32 v45, vcc, v48, v45, vcc
	global_load_dwordx4 v[49:52], v[44:45], off offset:320
	v_add_f32_e32 v5, v95, v46
	v_sub_f32_e32 v35, v35, v33
	v_mov_b32_e32 v33, v38
	v_add_f32_e32 v40, v5, v47
	s_waitcnt vmcnt(2) lgkmcnt(1)
	v_mul_f32_e32 v5, v66, v61
	v_fmac_f32_e32 v33, 0xbf5db3d7, v35
	v_fmac_f32_e32 v38, 0x3f5db3d7, v35
	v_fma_f32 v35, v26, v60, -v5
	s_waitcnt lgkmcnt(0)
	v_mul_f32_e32 v5, v71, v63
	v_mul_f32_e32 v26, v26, v61
	v_fma_f32 v53, v24, v62, -v5
	v_fmac_f32_e32 v26, v60, v66
	ds_read_b32 v60, v57
	ds_read_b32 v68, v56
	v_lshlrev_b32_e32 v5, 1, v72
	v_mul_f32_e32 v24, v24, v63
	v_lshlrev_b64 v[44:45], 3, v[5:6]
	v_fmac_f32_e32 v24, v62, v71
	v_add_f32_e32 v47, v26, v24
	v_add_co_u32_e32 v44, vcc, s12, v44
	v_addc_co_u32_e32 v45, vcc, v48, v45, vcc
	s_waitcnt lgkmcnt(1)
	v_fma_f32 v47, -0.5, v47, v60
	v_add_f32_e32 v5, v26, v60
	v_sub_f32_e32 v46, v35, v53
	global_load_dwordx4 v[56:59], v[44:45], off offset:320
	v_mov_b32_e32 v45, v47
	v_add_f32_e32 v72, v24, v5
	v_add_f32_e32 v5, v35, v53
	v_fmac_f32_e32 v45, 0x3f5db3d7, v46
	v_fmac_f32_e32 v47, 0xbf5db3d7, v46
	v_fma_f32 v46, -0.5, v5, v94
	v_sub_f32_e32 v5, v26, v24
	v_mov_b32_e32 v44, v46
	v_fmac_f32_e32 v44, 0xbf5db3d7, v5
	v_fmac_f32_e32 v46, 0x3f5db3d7, v5
	v_add_f32_e32 v5, v94, v35
	v_add_f32_e32 v71, v5, v53
	s_waitcnt vmcnt(2)
	v_mul_f32_e32 v5, v65, v74
	v_fma_f32 v35, v25, v73, -v5
	v_mul_f32_e32 v5, v70, v76
	v_fma_f32 v53, v23, v75, -v5
	v_mul_f32_e32 v24, v25, v74
	v_mul_f32_e32 v23, v23, v76
	v_lshlrev_b32_e32 v5, 1, v69
	v_fmac_f32_e32 v24, v73, v65
	v_fmac_f32_e32 v23, v75, v70
	v_lshlrev_b64 v[60:61], 3, v[5:6]
	v_add_f32_e32 v25, v24, v23
	s_waitcnt lgkmcnt(0)
	v_fma_f32 v66, -0.5, v25, v68
	v_add_co_u32_e32 v60, vcc, s12, v60
	v_sub_f32_e32 v5, v35, v53
	v_mov_b32_e32 v69, v66
	v_addc_co_u32_e32 v61, vcc, v48, v61, vcc
	v_fmac_f32_e32 v69, 0x3f5db3d7, v5
	v_fmac_f32_e32 v66, 0xbf5db3d7, v5
	v_add_f32_e32 v5, v24, v68
	global_load_dwordx4 v[60:63], v[60:61], off offset:320
	v_add_f32_e32 v74, v23, v5
	v_add_f32_e32 v5, v35, v53
	v_fma_f32 v65, -0.5, v5, v90
	v_lshlrev_b32_e32 v5, 1, v67
	v_lshlrev_b64 v[5:6], 3, v[5:6]
	v_sub_f32_e32 v70, v24, v23
	v_add_co_u32_e32 v5, vcc, s12, v5
	v_addc_co_u32_e32 v6, vcc, v48, v6, vcc
	global_load_dwordx4 v[23:26], v[5:6], off offset:320
	ds_read2_b32 v[5:6], v0 offset0:60 offset1:65
	ds_read2_b32 v[75:76], v0 offset0:110 offset1:115
	v_add_f32_e32 v35, v90, v35
	v_add_f32_e32 v73, v35, v53
	v_mov_b32_e32 v68, v65
	v_fmac_f32_e32 v68, 0xbf5db3d7, v70
	v_fmac_f32_e32 v65, 0x3f5db3d7, v70
	ds_read2_b32 v[78:79], v0 offset0:50 offset1:55
	s_waitcnt vmcnt(3) lgkmcnt(2)
	v_mul_f32_e32 v35, v6, v50
	v_fma_f32 v35, v16, v49, -v35
	v_mul_f32_e32 v16, v16, v50
	v_fmac_f32_e32 v16, v49, v6
	v_mul_f32_e32 v6, v18, v52
	s_waitcnt lgkmcnt(1)
	v_mul_f32_e32 v48, v76, v52
	v_fmac_f32_e32 v6, v51, v76
	v_fma_f32 v70, v18, v51, -v48
	v_add_f32_e32 v18, v16, v6
	v_fma_f32 v49, -0.5, v18, v80
	v_add_f32_e32 v18, v16, v80
	v_sub_f32_e32 v48, v35, v70
	v_mov_b32_e32 v51, v49
	v_add_f32_e32 v53, v6, v18
	v_add_f32_e32 v18, v35, v70
	v_fmac_f32_e32 v51, 0x3f5db3d7, v48
	v_fmac_f32_e32 v49, 0xbf5db3d7, v48
	v_fma_f32 v48, -0.5, v18, v77
	v_sub_f32_e32 v6, v16, v6
	v_mov_b32_e32 v50, v48
	v_fmac_f32_e32 v50, 0xbf5db3d7, v6
	v_fmac_f32_e32 v48, 0x3f5db3d7, v6
	v_add_f32_e32 v6, v77, v35
	v_add_f32_e32 v52, v6, v70
	s_waitcnt vmcnt(2)
	v_mul_f32_e32 v6, v5, v57
	v_fma_f32 v35, v15, v56, -v6
	v_mul_f32_e32 v6, v75, v59
	v_fma_f32 v70, v17, v58, -v6
	v_mul_f32_e32 v15, v15, v57
	v_mul_f32_e32 v17, v17, v59
	v_fmac_f32_e32 v15, v56, v5
	v_fmac_f32_e32 v17, v58, v75
	v_add_f32_e32 v5, v15, v17
	v_fma_f32 v6, -0.5, v5, v81
	ds_read2_b32 v[56:57], v0 offset0:100 offset1:105
	v_sub_f32_e32 v18, v35, v70
	v_mov_b32_e32 v16, v6
	v_add_f32_e32 v5, v15, v81
	v_fmac_f32_e32 v16, 0x3f5db3d7, v18
	v_fmac_f32_e32 v6, 0xbf5db3d7, v18
	v_add_f32_e32 v18, v17, v5
	v_add_f32_e32 v5, v35, v70
	v_fma_f32 v5, -0.5, v5, v64
	v_sub_f32_e32 v17, v15, v17
	v_mov_b32_e32 v15, v5
	v_add_f32_e32 v0, v64, v35
	v_fmac_f32_e32 v15, 0xbf5db3d7, v17
	v_fmac_f32_e32 v5, 0x3f5db3d7, v17
	v_add_f32_e32 v17, v0, v70
	s_waitcnt vmcnt(1) lgkmcnt(1)
	v_mul_f32_e32 v0, v79, v61
	s_waitcnt lgkmcnt(0)
	v_mul_f32_e32 v35, v57, v63
	v_fma_f32 v0, v10, v60, -v0
	v_fma_f32 v35, v8, v62, -v35
	v_mul_f32_e32 v10, v10, v61
	v_mul_f32_e32 v8, v8, v63
	v_fmac_f32_e32 v10, v60, v79
	v_fmac_f32_e32 v8, v62, v57
	v_add_f32_e32 v57, v10, v8
	v_fma_f32 v58, -0.5, v57, v82
	v_add_f32_e32 v57, v10, v82
	v_sub_f32_e32 v59, v0, v35
	v_add_f32_e32 v62, v8, v57
	v_add_f32_e32 v57, v0, v35
	v_add_f32_e32 v0, v55, v0
	v_add_f32_e32 v61, v0, v35
	s_waitcnt vmcnt(0)
	v_mul_f32_e32 v0, v78, v24
	v_fma_f32 v35, v9, v23, -v0
	v_mul_f32_e32 v9, v9, v24
	v_fmac_f32_e32 v9, v23, v78
	v_mul_f32_e32 v23, v7, v26
	v_mov_b32_e32 v60, v58
	v_fma_f32 v57, -0.5, v57, v55
	v_mul_f32_e32 v0, v56, v26
	v_fmac_f32_e32 v23, v25, v56
	v_fmac_f32_e32 v60, 0x3f5db3d7, v59
	;; [unrolled: 1-line block ×3, first 2 shown]
	v_sub_f32_e32 v8, v10, v8
	v_mov_b32_e32 v59, v57
	v_fma_f32 v63, v7, v25, -v0
	v_add_f32_e32 v7, v9, v23
	v_fmac_f32_e32 v59, 0xbf5db3d7, v8
	v_fmac_f32_e32 v57, 0x3f5db3d7, v8
	v_fma_f32 v8, -0.5, v7, v83
	v_mul_hi_u32 v7, v67, s1
	v_sub_f32_e32 v0, v35, v63
	v_mov_b32_e32 v10, v8
	v_fmac_f32_e32 v10, 0x3f5db3d7, v0
	v_lshrrev_b32_e32 v7, 4, v7
	v_mul_lo_u32 v25, v7, 50
	v_fmac_f32_e32 v8, 0xbf5db3d7, v0
	v_add_f32_e32 v0, v9, v83
	v_add_f32_e32 v24, v23, v0
	v_sub_u32_e32 v64, v67, v25
	v_mad_u64_u32 v[25:26], s[4:5], s2, v64, 0
	v_add_f32_e32 v0, v35, v63
	v_fma_f32 v7, -0.5, v0, v54
	v_mov_b32_e32 v0, v26
	v_mad_u64_u32 v[55:56], s[4:5], s3, v64, v[0:1]
	v_sub_f32_e32 v23, v9, v23
	v_mov_b32_e32 v9, v7
	v_add_f32_e32 v0, v54, v35
	v_fmac_f32_e32 v9, 0xbf5db3d7, v23
	v_fmac_f32_e32 v7, 0x3f5db3d7, v23
	v_add_f32_e32 v23, v0, v63
	v_mov_b32_e32 v26, v55
	v_mov_b32_e32 v0, s11
	v_add_co_u32_e32 v35, vcc, s10, v42
	v_add_u32_e32 v55, 50, v64
	v_addc_co_u32_e32 v54, vcc, v0, v43, vcc
	v_mad_u64_u32 v[42:43], s[4:5], s2, v55, 0
	v_lshlrev_b64 v[0:1], 3, v[1:2]
	v_lshlrev_b64 v[25:26], 3, v[25:26]
	v_add_co_u32_e32 v0, vcc, v35, v0
	v_mov_b32_e32 v2, v43
	v_addc_co_u32_e32 v1, vcc, v54, v1, vcc
	v_mad_u64_u32 v[54:55], s[4:5], s3, v55, v[2:3]
	v_add_co_u32_e32 v25, vcc, v0, v25
	v_addc_co_u32_e32 v26, vcc, v1, v26, vcc
	v_mov_b32_e32 v43, v54
	global_store_dwordx2 v[25:26], v[23:24], off
	v_lshlrev_b64 v[23:24], 3, v[42:43]
	v_add_u32_e32 v42, 5, v67
	v_mul_hi_u32 v2, v42, s1
	v_add_co_u32_e32 v23, vcc, v0, v23
	v_addc_co_u32_e32 v24, vcc, v1, v24, vcc
	v_add_u32_e32 v35, 0x64, v64
	v_mad_u64_u32 v[25:26], s[4:5], s2, v35, 0
	global_store_dwordx2 v[23:24], v[7:8], off
	v_lshrrev_b32_e32 v23, 4, v2
	v_mul_lo_u32 v24, v23, 50
	v_mov_b32_e32 v2, v26
	v_mad_u64_u32 v[7:8], s[4:5], s3, v35, v[2:3]
	v_sub_u32_e32 v2, v42, v24
	v_mad_u64_u32 v[23:24], s[4:5], v23, s0, v[2:3]
	v_mov_b32_e32 v26, v7
	v_lshlrev_b64 v[7:8], 3, v[25:26]
	v_mad_u64_u32 v[24:25], s[4:5], s2, v23, 0
	v_add_co_u32_e32 v7, vcc, v0, v7
	v_mov_b32_e32 v2, v25
	v_mad_u64_u32 v[25:26], s[4:5], s3, v23, v[2:3]
	v_add_u32_e32 v26, 50, v23
	v_mad_u64_u32 v[42:43], s[4:5], s2, v26, 0
	v_addc_co_u32_e32 v8, vcc, v1, v8, vcc
	global_store_dwordx2 v[7:8], v[9:10], off
	v_lshlrev_b64 v[7:8], 3, v[24:25]
	v_mov_b32_e32 v2, v43
	v_add_u32_e32 v24, 10, v67
	v_mad_u64_u32 v[9:10], s[4:5], s3, v26, v[2:3]
	v_mul_hi_u32 v2, v24, s1
	v_add_co_u32_e32 v7, vcc, v0, v7
	v_add_u32_e32 v23, 0x64, v23
	v_addc_co_u32_e32 v8, vcc, v1, v8, vcc
	v_mov_b32_e32 v43, v9
	v_mad_u64_u32 v[9:10], s[4:5], s2, v23, 0
	v_lshrrev_b32_e32 v25, 4, v2
	global_store_dwordx2 v[7:8], v[61:62], off
	v_lshlrev_b64 v[7:8], 3, v[42:43]
	v_mul_lo_u32 v26, v25, 50
	v_add_co_u32_e32 v7, vcc, v0, v7
	v_addc_co_u32_e32 v8, vcc, v1, v8, vcc
	v_mov_b32_e32 v2, v10
	global_store_dwordx2 v[7:8], v[57:58], off
	v_mad_u64_u32 v[7:8], s[4:5], s3, v23, v[2:3]
	v_sub_u32_e32 v2, v24, v26
	v_mad_u64_u32 v[23:24], s[4:5], v25, s0, v[2:3]
	v_mov_b32_e32 v10, v7
	v_lshlrev_b64 v[7:8], 3, v[9:10]
	v_mad_u64_u32 v[9:10], s[4:5], s2, v23, 0
	v_add_u32_e32 v35, 50, v23
	v_add_co_u32_e32 v7, vcc, v0, v7
	v_mov_b32_e32 v2, v10
	v_mad_u64_u32 v[24:25], s[4:5], s3, v23, v[2:3]
	v_mad_u64_u32 v[25:26], s[4:5], s2, v35, 0
	v_addc_co_u32_e32 v8, vcc, v1, v8, vcc
	v_mov_b32_e32 v10, v24
	v_mov_b32_e32 v2, v26
	global_store_dwordx2 v[7:8], v[59:60], off
	v_lshlrev_b64 v[7:8], 3, v[9:10]
	v_mad_u64_u32 v[9:10], s[4:5], s3, v35, v[2:3]
	v_add_co_u32_e32 v7, vcc, v0, v7
	v_addc_co_u32_e32 v8, vcc, v1, v8, vcc
	global_store_dwordx2 v[7:8], v[17:18], off
	v_mov_b32_e32 v26, v9
	v_add_u32_e32 v18, 15, v67
	v_lshlrev_b64 v[7:8], 3, v[25:26]
	v_mul_hi_u32 v2, v18, s1
	v_add_co_u32_e32 v7, vcc, v0, v7
	v_addc_co_u32_e32 v8, vcc, v1, v8, vcc
	v_add_u32_e32 v17, 0x64, v23
	v_mad_u64_u32 v[9:10], s[4:5], s2, v17, 0
	global_store_dwordx2 v[7:8], v[5:6], off
	v_lshrrev_b32_e32 v7, 4, v2
	v_mul_lo_u32 v8, v7, 50
	v_mov_b32_e32 v2, v10
	v_mad_u64_u32 v[5:6], s[4:5], s3, v17, v[2:3]
	v_sub_u32_e32 v2, v18, v8
	v_mad_u64_u32 v[6:7], s[4:5], v7, s0, v[2:3]
	v_mov_b32_e32 v10, v5
	v_lshlrev_b64 v[7:8], 3, v[9:10]
	v_mad_u64_u32 v[9:10], s[4:5], s2, v6, 0
	v_add_u32_e32 v5, 50, v6
	v_mad_u64_u32 v[23:24], s[4:5], s2, v5, 0
	v_mov_b32_e32 v2, v10
	v_mad_u64_u32 v[17:18], s[4:5], s3, v6, v[2:3]
	v_add_co_u32_e32 v7, vcc, v0, v7
	v_addc_co_u32_e32 v8, vcc, v1, v8, vcc
	v_mov_b32_e32 v10, v17
	v_mov_b32_e32 v2, v24
	global_store_dwordx2 v[7:8], v[15:16], off
	v_lshlrev_b64 v[7:8], 3, v[9:10]
	v_mad_u64_u32 v[9:10], s[4:5], s3, v5, v[2:3]
	v_add_co_u32_e32 v7, vcc, v0, v7
	v_addc_co_u32_e32 v8, vcc, v1, v8, vcc
	v_mov_b32_e32 v24, v9
	v_add_u32_e32 v10, 20, v67
	global_store_dwordx2 v[7:8], v[52:53], off
	v_lshlrev_b64 v[7:8], 3, v[23:24]
	v_mul_hi_u32 v2, v10, s1
	v_add_co_u32_e32 v7, vcc, v0, v7
	v_addc_co_u32_e32 v8, vcc, v1, v8, vcc
	v_add_u32_e32 v9, 0x64, v6
	v_mad_u64_u32 v[5:6], s[4:5], s2, v9, 0
	global_store_dwordx2 v[7:8], v[48:49], off
	v_lshrrev_b32_e32 v8, 4, v2
	v_mul_lo_u32 v15, v8, 50
	v_mov_b32_e32 v2, v6
	v_mad_u64_u32 v[6:7], s[4:5], s3, v9, v[2:3]
	v_sub_u32_e32 v2, v10, v15
	v_mad_u64_u32 v[7:8], s[4:5], v8, s0, v[2:3]
	v_lshlrev_b64 v[5:6], 3, v[5:6]
	v_mad_u64_u32 v[8:9], s[4:5], s2, v7, 0
	v_add_co_u32_e32 v5, vcc, v0, v5
	v_mov_b32_e32 v2, v9
	v_mad_u64_u32 v[9:10], s[4:5], s3, v7, v[2:3]
	v_add_u32_e32 v10, 50, v7
	v_mad_u64_u32 v[15:16], s[4:5], s2, v10, 0
	v_addc_co_u32_e32 v6, vcc, v1, v6, vcc
	v_mov_b32_e32 v2, v16
	global_store_dwordx2 v[5:6], v[50:51], off
	v_lshlrev_b64 v[5:6], 3, v[8:9]
	v_mad_u64_u32 v[8:9], s[4:5], s3, v10, v[2:3]
	v_add_u32_e32 v10, 25, v67
	v_mul_hi_u32 v2, v10, s1
	v_add_co_u32_e32 v5, vcc, v0, v5
	v_addc_co_u32_e32 v6, vcc, v1, v6, vcc
	v_mov_b32_e32 v16, v8
	v_add_u32_e32 v9, 0x64, v7
	global_store_dwordx2 v[5:6], v[73:74], off
	v_lshlrev_b64 v[5:6], 3, v[15:16]
	v_mad_u64_u32 v[7:8], s[4:5], s2, v9, 0
	v_lshrrev_b32_e32 v15, 4, v2
	v_mul_lo_u32 v16, v15, 50
	v_add_co_u32_e32 v5, vcc, v0, v5
	v_addc_co_u32_e32 v6, vcc, v1, v6, vcc
	v_mov_b32_e32 v2, v8
	global_store_dwordx2 v[5:6], v[65:66], off
	v_mad_u64_u32 v[5:6], s[4:5], s3, v9, v[2:3]
	v_sub_u32_e32 v2, v10, v16
	v_mad_u64_u32 v[9:10], s[4:5], v15, s0, v[2:3]
	v_mov_b32_e32 v8, v5
	v_lshlrev_b64 v[5:6], 3, v[7:8]
	v_mad_u64_u32 v[7:8], s[4:5], s2, v9, 0
	v_add_u32_e32 v10, 50, v9
	v_add_co_u32_e32 v5, vcc, v0, v5
	v_mov_b32_e32 v2, v8
	v_mad_u64_u32 v[15:16], s[4:5], s3, v9, v[2:3]
	v_mad_u64_u32 v[16:17], s[4:5], s2, v10, 0
	v_addc_co_u32_e32 v6, vcc, v1, v6, vcc
	v_mov_b32_e32 v8, v15
	v_mov_b32_e32 v2, v17
	global_store_dwordx2 v[5:6], v[68:69], off
	v_lshlrev_b64 v[5:6], 3, v[7:8]
	v_mad_u64_u32 v[7:8], s[4:5], s3, v10, v[2:3]
	v_add_u32_e32 v10, 30, v67
	v_mul_hi_u32 v2, v10, s1
	v_add_co_u32_e32 v5, vcc, v0, v5
	v_add_u32_e32 v9, 0x64, v9
	v_addc_co_u32_e32 v6, vcc, v1, v6, vcc
	v_mov_b32_e32 v17, v7
	v_mad_u64_u32 v[7:8], s[4:5], s2, v9, 0
	v_lshrrev_b32_e32 v15, 4, v2
	global_store_dwordx2 v[5:6], v[71:72], off
	v_lshlrev_b64 v[5:6], 3, v[16:17]
	v_mul_lo_u32 v16, v15, 50
	v_add_co_u32_e32 v5, vcc, v0, v5
	v_addc_co_u32_e32 v6, vcc, v1, v6, vcc
	v_mov_b32_e32 v2, v8
	global_store_dwordx2 v[5:6], v[46:47], off
	v_mad_u64_u32 v[5:6], s[4:5], s3, v9, v[2:3]
	v_sub_u32_e32 v2, v10, v16
	v_mad_u64_u32 v[9:10], s[4:5], v15, s0, v[2:3]
	v_mov_b32_e32 v8, v5
	v_lshlrev_b64 v[5:6], 3, v[7:8]
	v_mad_u64_u32 v[7:8], s[4:5], s2, v9, 0
	v_add_u32_e32 v10, 50, v9
	v_add_co_u32_e32 v5, vcc, v0, v5
	v_mov_b32_e32 v2, v8
	v_mad_u64_u32 v[15:16], s[4:5], s3, v9, v[2:3]
	v_mad_u64_u32 v[16:17], s[4:5], s2, v10, 0
	v_addc_co_u32_e32 v6, vcc, v1, v6, vcc
	v_mov_b32_e32 v8, v15
	v_mov_b32_e32 v2, v17
	global_store_dwordx2 v[5:6], v[44:45], off
	v_lshlrev_b64 v[5:6], 3, v[7:8]
	v_mad_u64_u32 v[7:8], s[4:5], s3, v10, v[2:3]
	v_add_u32_e32 v10, 35, v67
	v_mul_hi_u32 v2, v10, s1
	v_add_co_u32_e32 v5, vcc, v0, v5
	v_add_u32_e32 v9, 0x64, v9
	v_addc_co_u32_e32 v6, vcc, v1, v6, vcc
	v_mov_b32_e32 v17, v7
	v_mad_u64_u32 v[7:8], s[4:5], s2, v9, 0
	v_lshrrev_b32_e32 v15, 4, v2
	global_store_dwordx2 v[5:6], v[40:41], off
	v_lshlrev_b64 v[5:6], 3, v[16:17]
	;; [unrolled: 32-line block ×3, first 2 shown]
	v_mul_lo_u32 v16, v15, 50
	v_add_co_u32_e32 v5, vcc, v0, v5
	v_addc_co_u32_e32 v6, vcc, v1, v6, vcc
	v_mov_b32_e32 v2, v8
	global_store_dwordx2 v[5:6], v[31:32], off
	v_mad_u64_u32 v[5:6], s[4:5], s3, v9, v[2:3]
	v_sub_u32_e32 v2, v10, v16
	v_mad_u64_u32 v[9:10], s[4:5], v15, s0, v[2:3]
	v_mov_b32_e32 v8, v5
	v_lshlrev_b64 v[5:6], 3, v[7:8]
	v_mad_u64_u32 v[7:8], s[4:5], s2, v9, 0
	v_add_u32_e32 v10, 50, v9
	v_add_co_u32_e32 v5, vcc, v0, v5
	v_mov_b32_e32 v2, v8
	v_mad_u64_u32 v[15:16], s[4:5], s3, v9, v[2:3]
	v_mad_u64_u32 v[16:17], s[4:5], s2, v10, 0
	v_addc_co_u32_e32 v6, vcc, v1, v6, vcc
	v_mov_b32_e32 v8, v15
	v_mov_b32_e32 v2, v17
	global_store_dwordx2 v[5:6], v[29:30], off
	v_lshlrev_b64 v[5:6], 3, v[7:8]
	v_mad_u64_u32 v[7:8], s[4:5], s3, v10, v[2:3]
	v_add_u32_e32 v10, 45, v67
	v_mul_hi_u32 v2, v10, s1
	v_add_co_u32_e32 v5, vcc, v0, v5
	v_addc_co_u32_e32 v6, vcc, v1, v6, vcc
	v_mov_b32_e32 v17, v7
	v_add_u32_e32 v15, 0x64, v9
	v_lshrrev_b32_e32 v9, 4, v2
	global_store_dwordx2 v[5:6], v[27:28], off
	v_lshlrev_b64 v[5:6], 3, v[16:17]
	v_mad_u64_u32 v[7:8], s[4:5], s2, v15, 0
	v_mul_lo_u32 v16, v9, 50
	v_add_co_u32_e32 v5, vcc, v0, v5
	v_mov_b32_e32 v2, v8
	v_sub_u32_e32 v8, v10, v16
	v_mad_u64_u32 v[9:10], s[0:1], v9, s0, v[8:9]
	v_mad_u64_u32 v[15:16], s[0:1], s3, v15, v[2:3]
	;; [unrolled: 1-line block ×3, first 2 shown]
	v_addc_co_u32_e32 v6, vcc, v1, v6, vcc
	v_mov_b32_e32 v8, v15
	v_mov_b32_e32 v2, v17
	global_store_dwordx2 v[5:6], v[21:22], off
	v_lshlrev_b64 v[5:6], 3, v[7:8]
	v_mad_u64_u32 v[7:8], s[0:1], s3, v9, v[2:3]
	v_add_u32_e32 v10, 50, v9
	v_add_co_u32_e32 v5, vcc, v0, v5
	v_mov_b32_e32 v17, v7
	v_mad_u64_u32 v[7:8], s[0:1], s2, v10, 0
	v_addc_co_u32_e32 v6, vcc, v1, v6, vcc
	v_mov_b32_e32 v2, v8
	global_store_dwordx2 v[5:6], v[19:20], off
	v_lshlrev_b64 v[5:6], 3, v[16:17]
	v_mad_u64_u32 v[15:16], s[0:1], s3, v10, v[2:3]
	v_add_u32_e32 v16, 0x64, v9
	v_mad_u64_u32 v[9:10], s[0:1], s2, v16, 0
	v_add_co_u32_e32 v5, vcc, v0, v5
	v_addc_co_u32_e32 v6, vcc, v1, v6, vcc
	v_mov_b32_e32 v8, v15
	v_mov_b32_e32 v2, v10
	global_store_dwordx2 v[5:6], v[13:14], off
	v_lshlrev_b64 v[5:6], 3, v[7:8]
	v_mad_u64_u32 v[7:8], s[0:1], s3, v16, v[2:3]
	v_add_co_u32_e32 v5, vcc, v0, v5
	v_addc_co_u32_e32 v6, vcc, v1, v6, vcc
	v_mov_b32_e32 v10, v7
	global_store_dwordx2 v[5:6], v[11:12], off
	v_lshlrev_b64 v[5:6], 3, v[9:10]
	v_add_co_u32_e32 v0, vcc, v0, v5
	v_addc_co_u32_e32 v1, vcc, v1, v6, vcc
	global_store_dwordx2 v[0:1], v[3:4], off
.LBB0_14:
	s_endpgm
	.section	.rodata,"a",@progbits
	.p2align	6, 0x0
	.amdhsa_kernel fft_rtc_fwd_len150_factors_10_5_3_wgs_60_tpt_5_halfLds_sp_op_CI_CI_sbrr_dirReg
		.amdhsa_group_segment_fixed_size 0
		.amdhsa_private_segment_fixed_size 0
		.amdhsa_kernarg_size 104
		.amdhsa_user_sgpr_count 6
		.amdhsa_user_sgpr_private_segment_buffer 1
		.amdhsa_user_sgpr_dispatch_ptr 0
		.amdhsa_user_sgpr_queue_ptr 0
		.amdhsa_user_sgpr_kernarg_segment_ptr 1
		.amdhsa_user_sgpr_dispatch_id 0
		.amdhsa_user_sgpr_flat_scratch_init 0
		.amdhsa_user_sgpr_private_segment_size 0
		.amdhsa_uses_dynamic_stack 0
		.amdhsa_system_sgpr_private_segment_wavefront_offset 0
		.amdhsa_system_sgpr_workgroup_id_x 1
		.amdhsa_system_sgpr_workgroup_id_y 0
		.amdhsa_system_sgpr_workgroup_id_z 0
		.amdhsa_system_sgpr_workgroup_info 0
		.amdhsa_system_vgpr_workitem_id 0
		.amdhsa_next_free_vgpr 123
		.amdhsa_next_free_sgpr 32
		.amdhsa_reserve_vcc 1
		.amdhsa_reserve_flat_scratch 0
		.amdhsa_float_round_mode_32 0
		.amdhsa_float_round_mode_16_64 0
		.amdhsa_float_denorm_mode_32 3
		.amdhsa_float_denorm_mode_16_64 3
		.amdhsa_dx10_clamp 1
		.amdhsa_ieee_mode 1
		.amdhsa_fp16_overflow 0
		.amdhsa_exception_fp_ieee_invalid_op 0
		.amdhsa_exception_fp_denorm_src 0
		.amdhsa_exception_fp_ieee_div_zero 0
		.amdhsa_exception_fp_ieee_overflow 0
		.amdhsa_exception_fp_ieee_underflow 0
		.amdhsa_exception_fp_ieee_inexact 0
		.amdhsa_exception_int_div_zero 0
	.end_amdhsa_kernel
	.text
.Lfunc_end0:
	.size	fft_rtc_fwd_len150_factors_10_5_3_wgs_60_tpt_5_halfLds_sp_op_CI_CI_sbrr_dirReg, .Lfunc_end0-fft_rtc_fwd_len150_factors_10_5_3_wgs_60_tpt_5_halfLds_sp_op_CI_CI_sbrr_dirReg
                                        ; -- End function
	.section	.AMDGPU.csdata,"",@progbits
; Kernel info:
; codeLenInByte = 13716
; NumSgprs: 36
; NumVgprs: 123
; ScratchSize: 0
; MemoryBound: 0
; FloatMode: 240
; IeeeMode: 1
; LDSByteSize: 0 bytes/workgroup (compile time only)
; SGPRBlocks: 4
; VGPRBlocks: 30
; NumSGPRsForWavesPerEU: 36
; NumVGPRsForWavesPerEU: 123
; Occupancy: 2
; WaveLimiterHint : 1
; COMPUTE_PGM_RSRC2:SCRATCH_EN: 0
; COMPUTE_PGM_RSRC2:USER_SGPR: 6
; COMPUTE_PGM_RSRC2:TRAP_HANDLER: 0
; COMPUTE_PGM_RSRC2:TGID_X_EN: 1
; COMPUTE_PGM_RSRC2:TGID_Y_EN: 0
; COMPUTE_PGM_RSRC2:TGID_Z_EN: 0
; COMPUTE_PGM_RSRC2:TIDIG_COMP_CNT: 0
	.type	__hip_cuid_644ed42aa4f5beac,@object ; @__hip_cuid_644ed42aa4f5beac
	.section	.bss,"aw",@nobits
	.globl	__hip_cuid_644ed42aa4f5beac
__hip_cuid_644ed42aa4f5beac:
	.byte	0                               ; 0x0
	.size	__hip_cuid_644ed42aa4f5beac, 1

	.ident	"AMD clang version 19.0.0git (https://github.com/RadeonOpenCompute/llvm-project roc-6.4.0 25133 c7fe45cf4b819c5991fe208aaa96edf142730f1d)"
	.section	".note.GNU-stack","",@progbits
	.addrsig
	.addrsig_sym __hip_cuid_644ed42aa4f5beac
	.amdgpu_metadata
---
amdhsa.kernels:
  - .args:
      - .actual_access:  read_only
        .address_space:  global
        .offset:         0
        .size:           8
        .value_kind:     global_buffer
      - .offset:         8
        .size:           8
        .value_kind:     by_value
      - .actual_access:  read_only
        .address_space:  global
        .offset:         16
        .size:           8
        .value_kind:     global_buffer
      - .actual_access:  read_only
        .address_space:  global
        .offset:         24
        .size:           8
        .value_kind:     global_buffer
      - .actual_access:  read_only
        .address_space:  global
        .offset:         32
        .size:           8
        .value_kind:     global_buffer
      - .offset:         40
        .size:           8
        .value_kind:     by_value
      - .actual_access:  read_only
        .address_space:  global
        .offset:         48
        .size:           8
        .value_kind:     global_buffer
      - .actual_access:  read_only
        .address_space:  global
        .offset:         56
        .size:           8
        .value_kind:     global_buffer
      - .offset:         64
        .size:           4
        .value_kind:     by_value
      - .actual_access:  read_only
        .address_space:  global
        .offset:         72
        .size:           8
        .value_kind:     global_buffer
      - .actual_access:  read_only
        .address_space:  global
        .offset:         80
        .size:           8
        .value_kind:     global_buffer
      - .actual_access:  read_only
        .address_space:  global
        .offset:         88
        .size:           8
        .value_kind:     global_buffer
      - .actual_access:  write_only
        .address_space:  global
        .offset:         96
        .size:           8
        .value_kind:     global_buffer
    .group_segment_fixed_size: 0
    .kernarg_segment_align: 8
    .kernarg_segment_size: 104
    .language:       OpenCL C
    .language_version:
      - 2
      - 0
    .max_flat_workgroup_size: 60
    .name:           fft_rtc_fwd_len150_factors_10_5_3_wgs_60_tpt_5_halfLds_sp_op_CI_CI_sbrr_dirReg
    .private_segment_fixed_size: 0
    .sgpr_count:     36
    .sgpr_spill_count: 0
    .symbol:         fft_rtc_fwd_len150_factors_10_5_3_wgs_60_tpt_5_halfLds_sp_op_CI_CI_sbrr_dirReg.kd
    .uniform_work_group_size: 1
    .uses_dynamic_stack: false
    .vgpr_count:     123
    .vgpr_spill_count: 0
    .wavefront_size: 64
amdhsa.target:   amdgcn-amd-amdhsa--gfx906
amdhsa.version:
  - 1
  - 2
...

	.end_amdgpu_metadata
